;; amdgpu-corpus repo=ROCm/rocFFT kind=compiled arch=gfx906 opt=O3
	.text
	.amdgcn_target "amdgcn-amd-amdhsa--gfx906"
	.amdhsa_code_object_version 6
	.protected	fft_rtc_fwd_len1925_factors_7_11_5_5_wgs_55_tpt_55_halfLds_sp_op_CI_CI_unitstride_sbrr_dirReg ; -- Begin function fft_rtc_fwd_len1925_factors_7_11_5_5_wgs_55_tpt_55_halfLds_sp_op_CI_CI_unitstride_sbrr_dirReg
	.globl	fft_rtc_fwd_len1925_factors_7_11_5_5_wgs_55_tpt_55_halfLds_sp_op_CI_CI_unitstride_sbrr_dirReg
	.p2align	8
	.type	fft_rtc_fwd_len1925_factors_7_11_5_5_wgs_55_tpt_55_halfLds_sp_op_CI_CI_unitstride_sbrr_dirReg,@function
fft_rtc_fwd_len1925_factors_7_11_5_5_wgs_55_tpt_55_halfLds_sp_op_CI_CI_unitstride_sbrr_dirReg: ; @fft_rtc_fwd_len1925_factors_7_11_5_5_wgs_55_tpt_55_halfLds_sp_op_CI_CI_unitstride_sbrr_dirReg
; %bb.0:
	s_load_dwordx4 s[8:11], s[4:5], 0x58
	s_load_dwordx4 s[12:15], s[4:5], 0x0
	;; [unrolled: 1-line block ×3, first 2 shown]
	v_mul_u32_u24_e32 v1, 0x4a8, v0
	v_mov_b32_e32 v5, 0
	v_mov_b32_e32 v9, 0
	s_waitcnt lgkmcnt(0)
	v_cmp_lt_u64_e64 s[0:1], s[14:15], 2
	v_add_u32_sdwa v7, s6, v1 dst_sel:DWORD dst_unused:UNUSED_PAD src0_sel:DWORD src1_sel:WORD_1
	v_mov_b32_e32 v8, v5
	s_and_b64 vcc, exec, s[0:1]
	v_mov_b32_e32 v10, 0
	s_cbranch_vccnz .LBB0_8
; %bb.1:
	s_load_dwordx2 s[0:1], s[4:5], 0x10
	s_add_u32 s2, s18, 8
	s_addc_u32 s3, s19, 0
	s_add_u32 s6, s16, 8
	s_addc_u32 s7, s17, 0
	v_mov_b32_e32 v9, 0
	s_waitcnt lgkmcnt(0)
	s_add_u32 s20, s0, 8
	v_mov_b32_e32 v10, 0
	v_mov_b32_e32 v1, v9
	s_addc_u32 s21, s1, 0
	s_mov_b64 s[22:23], 1
	v_mov_b32_e32 v2, v10
.LBB0_2:                                ; =>This Inner Loop Header: Depth=1
	s_load_dwordx2 s[24:25], s[20:21], 0x0
                                        ; implicit-def: $vgpr3_vgpr4
	s_waitcnt lgkmcnt(0)
	v_or_b32_e32 v6, s25, v8
	v_cmp_ne_u64_e32 vcc, 0, v[5:6]
	s_and_saveexec_b64 s[0:1], vcc
	s_xor_b64 s[26:27], exec, s[0:1]
	s_cbranch_execz .LBB0_4
; %bb.3:                                ;   in Loop: Header=BB0_2 Depth=1
	v_cvt_f32_u32_e32 v3, s24
	v_cvt_f32_u32_e32 v4, s25
	s_sub_u32 s0, 0, s24
	s_subb_u32 s1, 0, s25
	v_mac_f32_e32 v3, 0x4f800000, v4
	v_rcp_f32_e32 v3, v3
	v_mul_f32_e32 v3, 0x5f7ffffc, v3
	v_mul_f32_e32 v4, 0x2f800000, v3
	v_trunc_f32_e32 v4, v4
	v_mac_f32_e32 v3, 0xcf800000, v4
	v_cvt_u32_f32_e32 v4, v4
	v_cvt_u32_f32_e32 v3, v3
	v_mul_lo_u32 v6, s0, v4
	v_mul_hi_u32 v11, s0, v3
	v_mul_lo_u32 v13, s1, v3
	v_mul_lo_u32 v12, s0, v3
	v_add_u32_e32 v6, v11, v6
	v_add_u32_e32 v6, v6, v13
	v_mul_hi_u32 v11, v3, v12
	v_mul_lo_u32 v13, v3, v6
	v_mul_hi_u32 v15, v3, v6
	v_mul_hi_u32 v14, v4, v12
	v_mul_lo_u32 v12, v4, v12
	v_mul_hi_u32 v16, v4, v6
	v_add_co_u32_e32 v11, vcc, v11, v13
	v_addc_co_u32_e32 v13, vcc, 0, v15, vcc
	v_mul_lo_u32 v6, v4, v6
	v_add_co_u32_e32 v11, vcc, v11, v12
	v_addc_co_u32_e32 v11, vcc, v13, v14, vcc
	v_addc_co_u32_e32 v12, vcc, 0, v16, vcc
	v_add_co_u32_e32 v6, vcc, v11, v6
	v_addc_co_u32_e32 v11, vcc, 0, v12, vcc
	v_add_co_u32_e32 v3, vcc, v3, v6
	v_addc_co_u32_e32 v4, vcc, v4, v11, vcc
	v_mul_lo_u32 v6, s0, v4
	v_mul_hi_u32 v11, s0, v3
	v_mul_lo_u32 v12, s1, v3
	v_mul_lo_u32 v13, s0, v3
	v_add_u32_e32 v6, v11, v6
	v_add_u32_e32 v6, v6, v12
	v_mul_lo_u32 v14, v3, v6
	v_mul_hi_u32 v15, v3, v13
	v_mul_hi_u32 v16, v3, v6
	v_mul_hi_u32 v12, v4, v13
	v_mul_lo_u32 v13, v4, v13
	v_mul_hi_u32 v11, v4, v6
	v_add_co_u32_e32 v14, vcc, v15, v14
	v_addc_co_u32_e32 v15, vcc, 0, v16, vcc
	v_mul_lo_u32 v6, v4, v6
	v_add_co_u32_e32 v13, vcc, v14, v13
	v_addc_co_u32_e32 v12, vcc, v15, v12, vcc
	v_addc_co_u32_e32 v11, vcc, 0, v11, vcc
	v_add_co_u32_e32 v6, vcc, v12, v6
	v_addc_co_u32_e32 v11, vcc, 0, v11, vcc
	v_add_co_u32_e32 v6, vcc, v3, v6
	v_addc_co_u32_e32 v11, vcc, v4, v11, vcc
	v_mad_u64_u32 v[3:4], s[0:1], v7, v11, 0
	v_mul_hi_u32 v12, v7, v6
	v_add_co_u32_e32 v13, vcc, v12, v3
	v_addc_co_u32_e32 v14, vcc, 0, v4, vcc
	v_mad_u64_u32 v[3:4], s[0:1], v8, v6, 0
	v_mad_u64_u32 v[11:12], s[0:1], v8, v11, 0
	v_add_co_u32_e32 v3, vcc, v13, v3
	v_addc_co_u32_e32 v3, vcc, v14, v4, vcc
	v_addc_co_u32_e32 v4, vcc, 0, v12, vcc
	v_add_co_u32_e32 v6, vcc, v3, v11
	v_addc_co_u32_e32 v11, vcc, 0, v4, vcc
	v_mul_lo_u32 v12, s25, v6
	v_mul_lo_u32 v13, s24, v11
	v_mad_u64_u32 v[3:4], s[0:1], s24, v6, 0
	v_add3_u32 v4, v4, v13, v12
	v_sub_u32_e32 v12, v8, v4
	v_mov_b32_e32 v13, s25
	v_sub_co_u32_e32 v3, vcc, v7, v3
	v_subb_co_u32_e64 v12, s[0:1], v12, v13, vcc
	v_subrev_co_u32_e64 v13, s[0:1], s24, v3
	v_subbrev_co_u32_e64 v12, s[0:1], 0, v12, s[0:1]
	v_cmp_le_u32_e64 s[0:1], s25, v12
	v_cndmask_b32_e64 v14, 0, -1, s[0:1]
	v_cmp_le_u32_e64 s[0:1], s24, v13
	v_cndmask_b32_e64 v13, 0, -1, s[0:1]
	v_cmp_eq_u32_e64 s[0:1], s25, v12
	v_cndmask_b32_e64 v12, v14, v13, s[0:1]
	v_add_co_u32_e64 v13, s[0:1], 2, v6
	v_addc_co_u32_e64 v14, s[0:1], 0, v11, s[0:1]
	v_add_co_u32_e64 v15, s[0:1], 1, v6
	v_addc_co_u32_e64 v16, s[0:1], 0, v11, s[0:1]
	v_subb_co_u32_e32 v4, vcc, v8, v4, vcc
	v_cmp_ne_u32_e64 s[0:1], 0, v12
	v_cmp_le_u32_e32 vcc, s25, v4
	v_cndmask_b32_e64 v12, v16, v14, s[0:1]
	v_cndmask_b32_e64 v14, 0, -1, vcc
	v_cmp_le_u32_e32 vcc, s24, v3
	v_cndmask_b32_e64 v3, 0, -1, vcc
	v_cmp_eq_u32_e32 vcc, s25, v4
	v_cndmask_b32_e32 v3, v14, v3, vcc
	v_cmp_ne_u32_e32 vcc, 0, v3
	v_cndmask_b32_e64 v3, v15, v13, s[0:1]
	v_cndmask_b32_e32 v4, v11, v12, vcc
	v_cndmask_b32_e32 v3, v6, v3, vcc
.LBB0_4:                                ;   in Loop: Header=BB0_2 Depth=1
	s_andn2_saveexec_b64 s[0:1], s[26:27]
	s_cbranch_execz .LBB0_6
; %bb.5:                                ;   in Loop: Header=BB0_2 Depth=1
	v_cvt_f32_u32_e32 v3, s24
	s_sub_i32 s26, 0, s24
	v_rcp_iflag_f32_e32 v3, v3
	v_mul_f32_e32 v3, 0x4f7ffffe, v3
	v_cvt_u32_f32_e32 v3, v3
	v_mul_lo_u32 v4, s26, v3
	v_mul_hi_u32 v4, v3, v4
	v_add_u32_e32 v3, v3, v4
	v_mul_hi_u32 v3, v7, v3
	v_mul_lo_u32 v4, v3, s24
	v_add_u32_e32 v6, 1, v3
	v_sub_u32_e32 v4, v7, v4
	v_subrev_u32_e32 v11, s24, v4
	v_cmp_le_u32_e32 vcc, s24, v4
	v_cndmask_b32_e32 v4, v4, v11, vcc
	v_cndmask_b32_e32 v3, v3, v6, vcc
	v_add_u32_e32 v6, 1, v3
	v_cmp_le_u32_e32 vcc, s24, v4
	v_cndmask_b32_e32 v3, v3, v6, vcc
	v_mov_b32_e32 v4, v5
.LBB0_6:                                ;   in Loop: Header=BB0_2 Depth=1
	s_or_b64 exec, exec, s[0:1]
	v_mul_lo_u32 v6, v4, s24
	v_mul_lo_u32 v13, v3, s25
	v_mad_u64_u32 v[11:12], s[0:1], v3, s24, 0
	s_load_dwordx2 s[0:1], s[6:7], 0x0
	s_load_dwordx2 s[24:25], s[2:3], 0x0
	v_add3_u32 v6, v12, v13, v6
	v_sub_co_u32_e32 v7, vcc, v7, v11
	v_subb_co_u32_e32 v6, vcc, v8, v6, vcc
	s_waitcnt lgkmcnt(0)
	v_mul_lo_u32 v8, s0, v6
	v_mul_lo_u32 v11, s1, v7
	v_mad_u64_u32 v[9:10], s[0:1], s0, v7, v[9:10]
	v_mul_lo_u32 v6, s24, v6
	v_mul_lo_u32 v12, s25, v7
	v_mad_u64_u32 v[1:2], s[0:1], s24, v7, v[1:2]
	s_add_u32 s22, s22, 1
	s_addc_u32 s23, s23, 0
	s_add_u32 s2, s2, 8
	v_add3_u32 v2, v12, v2, v6
	s_addc_u32 s3, s3, 0
	v_mov_b32_e32 v6, s14
	s_add_u32 s6, s6, 8
	v_mov_b32_e32 v7, s15
	s_addc_u32 s7, s7, 0
	v_cmp_ge_u64_e32 vcc, s[22:23], v[6:7]
	s_add_u32 s20, s20, 8
	v_add3_u32 v10, v11, v10, v8
	s_addc_u32 s21, s21, 0
	s_cbranch_vccnz .LBB0_9
; %bb.7:                                ;   in Loop: Header=BB0_2 Depth=1
	v_mov_b32_e32 v8, v4
	v_mov_b32_e32 v7, v3
	s_branch .LBB0_2
.LBB0_8:
	v_mov_b32_e32 v1, v9
	v_mov_b32_e32 v3, v7
	;; [unrolled: 1-line block ×4, first 2 shown]
.LBB0_9:
	s_load_dwordx2 s[0:1], s[4:5], 0x28
	s_lshl_b64 s[6:7], s[14:15], 3
	s_add_u32 s2, s18, s6
	s_addc_u32 s3, s19, s7
                                        ; implicit-def: $sgpr14_sgpr15
                                        ; implicit-def: $vgpr116
	s_waitcnt lgkmcnt(0)
	v_cmp_gt_u64_e32 vcc, s[0:1], v[3:4]
	v_cmp_le_u64_e64 s[0:1], s[0:1], v[3:4]
	s_and_saveexec_b64 s[4:5], s[0:1]
	s_xor_b64 s[0:1], exec, s[4:5]
; %bb.10:
	s_mov_b32 s4, 0x4a7904b
	v_mul_hi_u32 v5, v0, s4
	s_mov_b64 s[14:15], 0
                                        ; implicit-def: $vgpr9_vgpr10
	v_mul_u32_u24_e32 v5, 55, v5
	v_sub_u32_e32 v116, v0, v5
                                        ; implicit-def: $vgpr0
; %bb.11:
	s_or_saveexec_b64 s[4:5], s[0:1]
	v_mov_b32_e32 v60, s15
	v_mov_b32_e32 v105, s15
	;; [unrolled: 1-line block ×40, first 2 shown]
                                        ; implicit-def: $vgpr68
                                        ; implicit-def: $vgpr78
                                        ; implicit-def: $vgpr50
                                        ; implicit-def: $vgpr54
                                        ; implicit-def: $vgpr18
                                        ; implicit-def: $vgpr22
                                        ; implicit-def: $vgpr28
                                        ; implicit-def: $vgpr6
                                        ; implicit-def: $vgpr8
                                        ; implicit-def: $vgpr12
                                        ; implicit-def: $vgpr58
                                        ; implicit-def: $vgpr40
                                        ; implicit-def: $vgpr52
                                        ; implicit-def: $vgpr82
                                        ; implicit-def: $vgpr107
	s_xor_b64 exec, exec, s[4:5]
	s_cbranch_execz .LBB0_13
; %bb.12:
	s_add_u32 s0, s16, s6
	s_addc_u32 s1, s17, s7
	s_load_dwordx2 s[0:1], s[0:1], 0x0
	s_mov_b32 s6, 0x4a7904b
	v_mul_hi_u32 v7, v0, s6
	s_waitcnt lgkmcnt(0)
	v_mul_lo_u32 v8, s1, v3
	v_mul_lo_u32 v11, s0, v4
	v_mad_u64_u32 v[5:6], s[0:1], s0, v3, 0
	v_mul_u32_u24_e32 v7, 55, v7
	v_sub_u32_e32 v116, v0, v7
	v_add3_u32 v6, v6, v11, v8
	v_lshlrev_b64 v[5:6], 3, v[5:6]
	v_mov_b32_e32 v0, s9
	v_add_co_u32_e64 v7, s[0:1], s8, v5
	v_addc_co_u32_e64 v0, s[0:1], v0, v6, s[0:1]
	v_lshlrev_b64 v[5:6], 3, v[9:10]
	v_add_co_u32_e64 v5, s[0:1], v7, v5
	v_addc_co_u32_e64 v0, s[0:1], v0, v6, s[0:1]
	v_lshlrev_b32_e32 v6, 3, v116
	v_add_co_u32_e64 v5, s[0:1], v5, v6
	v_addc_co_u32_e64 v6, s[0:1], 0, v0, s[0:1]
	s_movk_i32 s0, 0x1000
	v_add_co_u32_e64 v7, s[0:1], s0, v5
	v_addc_co_u32_e64 v8, s[0:1], 0, v6, s[0:1]
	s_movk_i32 s0, 0x2000
	;; [unrolled: 3-line block ×3, first 2 shown]
	v_add_co_u32_e64 v13, s[0:1], s0, v5
	v_addc_co_u32_e64 v14, s[0:1], 0, v6, s[0:1]
	global_load_dwordx2 v[43:44], v[5:6], off offset:3080
	global_load_dwordx2 v[39:40], v[9:10], off offset:3688
	global_load_dwordx2 v[86:87], v[5:6], off
	global_load_dwordx2 v[55:56], v[5:6], off offset:440
	global_load_dwordx2 v[41:42], v[5:6], off offset:880
	global_load_dwordx2 v[29:30], v[5:6], off offset:1320
	global_load_dwordx2 v[33:34], v[5:6], off offset:3520
	global_load_dwordx2 v[45:46], v[7:8], off offset:1184
	global_load_dwordx2 v[35:36], v[7:8], off offset:1624
	global_load_dwordx2 v[100:101], v[9:10], off offset:608
	global_load_dwordx2 v[65:66], v[9:10], off offset:1048
	global_load_dwordx2 v[47:48], v[9:10], off offset:1488
	global_load_dwordx2 v[37:38], v[9:10], off offset:1928
	global_load_dwordx2 v[73:74], v[5:6], off offset:2640
	global_load_dwordx2 v[59:60], v[5:6], off offset:2200
	global_load_dwordx2 v[19:20], v[5:6], off offset:1760
	global_load_dwordx2 v[83:84], v[7:8], off offset:744
	global_load_dwordx2 v[104:105], v[7:8], off offset:304
	global_load_dwordx2 v[23:24], v[5:6], off offset:3960
	global_load_dwordx2 v[67:68], v[7:8], off offset:2504
	global_load_dwordx2 v[25:26], v[7:8], off offset:2064
	global_load_dwordx2 v[81:82], v[7:8], off offset:2944
	global_load_dwordx2 v[51:52], v[7:8], off offset:3384
	global_load_dwordx2 v[17:18], v[7:8], off offset:3824
	global_load_dwordx2 v[11:12], v[9:10], off offset:168
	global_load_dwordx2 v[49:50], v[9:10], off offset:3248
	global_load_dwordx2 v[77:78], v[9:10], off offset:2808
	global_load_dwordx2 v[31:32], v[9:10], off offset:2368
	global_load_dwordx2 v[21:22], v[13:14], off offset:32
	global_load_dwordx2 v[53:54], v[13:14], off offset:1352
                                        ; kill: killed $vgpr5 killed $vgpr6
                                        ; kill: killed $vgpr7 killed $vgpr8
                                        ; kill: killed $vgpr9 killed $vgpr10
	global_load_dwordx2 v[106:107], v[13:14], off offset:912
	global_load_dwordx2 v[5:6], v[13:14], off offset:472
	;; [unrolled: 1-line block ×5, first 2 shown]
.LBB0_13:
	s_or_b64 exec, exec, s[4:5]
	s_waitcnt vmcnt(4)
	v_add_f32_e32 v0, v106, v59
	v_add_f32_e32 v10, v77, v104
	v_sub_f32_e32 v13, v105, v78
	v_add_f32_e32 v14, v67, v100
	v_sub_f32_e32 v15, v101, v68
	;; [unrolled: 2-line block ×3, first 2 shown]
	v_sub_f32_e32 v61, v10, v0
	v_sub_f32_e32 v0, v0, v14
	;; [unrolled: 1-line block ×3, first 2 shown]
	v_add_f32_e32 v62, v13, v15
	v_add_f32_e32 v14, v16, v14
	v_sub_f32_e32 v16, v15, v13
	v_sub_f32_e32 v15, v9, v15
	;; [unrolled: 1-line block ×3, first 2 shown]
	v_add_f32_e32 v9, v9, v62
	v_add_f32_e32 v62, v14, v86
	v_mov_b32_e32 v63, v62
	v_mul_f32_e32 v10, 0x3d64c772, v10
	s_mov_b32 s6, 0x3f3bfb3b
	v_fmac_f32_e32 v63, 0xbf955555, v14
	v_fma_f32 v14, v61, s6, -v10
	v_fmac_f32_e32 v10, 0x3f4a47b2, v0
	v_mul_f32_e32 v0, 0x3f4a47b2, v0
	s_mov_b32 s7, 0xbf3bfb3b
	v_fma_f32 v0, v61, s7, -v0
	v_mul_f32_e32 v16, 0xbf08b237, v16
	s_mov_b32 s8, 0x3f5ff5aa
	v_mul_f32_e32 v61, 0x3f5ff5aa, v13
	s_mov_b32 s9, 0xbeae86e6
	v_fma_f32 v13, v13, s8, -v16
	v_fmac_f32_e32 v16, 0x3eae86e6, v15
	v_fma_f32 v15, v15, s9, -v61
	v_add_f32_e32 v61, v10, v63
	v_add_f32_e32 v10, v14, v63
	;; [unrolled: 1-line block ×3, first 2 shown]
	v_fmac_f32_e32 v16, 0x3ee1c552, v9
	v_fmac_f32_e32 v13, 0x3ee1c552, v9
	;; [unrolled: 1-line block ×3, first 2 shown]
	v_add_f32_e32 v9, v61, v16
	v_sub_f32_e32 v14, v10, v13
	v_add_f32_e32 v10, v10, v13
	v_add_f32_e32 v13, v0, v15
	v_mad_u32_u24 v117, v116, 28, 0
	v_sub_f32_e32 v0, v0, v15
	ds_write2_b32 v117, v62, v9 offset1:1
	v_add_f32_e32 v9, v53, v73
	ds_write2_b32 v117, v13, v14 offset0:2 offset1:3
	v_add_f32_e32 v13, v49, v83
	v_add_f32_e32 v14, v81, v65
	ds_write2_b32 v117, v10, v0 offset0:4 offset1:5
	v_add_f32_e32 v0, v9, v13
	v_sub_f32_e32 v10, v13, v9
	v_sub_f32_e32 v9, v9, v14
	;; [unrolled: 1-line block ×3, first 2 shown]
	v_add_f32_e32 v0, v0, v14
	v_sub_f32_e32 v14, v84, v50
	v_sub_f32_e32 v62, v66, v82
	;; [unrolled: 1-line block ×3, first 2 shown]
	v_add_f32_e32 v63, v14, v62
	v_add_f32_e32 v55, v0, v55
	v_sub_f32_e32 v64, v62, v14
	v_sub_f32_e32 v62, v15, v62
	;; [unrolled: 1-line block ×3, first 2 shown]
	v_add_f32_e32 v15, v15, v63
	v_mov_b32_e32 v63, v55
	v_fmac_f32_e32 v63, 0xbf955555, v0
	v_mul_f32_e32 v0, 0x3d64c772, v13
	v_mul_f32_e32 v13, 0xbf08b237, v64
	v_fma_f32 v64, v10, s6, -v0
	v_fmac_f32_e32 v0, 0x3f4a47b2, v9
	v_mul_f32_e32 v9, 0x3f4a47b2, v9
	v_fma_f32 v69, v14, s8, -v13
	v_fmac_f32_e32 v13, 0x3eae86e6, v62
	v_fma_f32 v9, v10, s7, -v9
	v_mul_f32_e32 v10, 0x3f5ff5aa, v14
	v_add_f32_e32 v0, v0, v63
	v_fmac_f32_e32 v13, 0x3ee1c552, v15
	v_fma_f32 v10, v62, s9, -v10
	v_add_f32_e32 v70, v0, v13
	v_add_u32_e32 v118, 0x604, v117
	v_add_f32_e32 v14, v64, v63
	v_add_f32_e32 v9, v9, v63
	v_fmac_f32_e32 v69, 0x3ee1c552, v15
	v_fmac_f32_e32 v10, 0x3ee1c552, v15
	ds_write2_b32 v118, v55, v70 offset1:1
	v_add_f32_e32 v15, v9, v10
	v_sub_f32_e32 v55, v14, v69
	v_add_f32_e32 v14, v14, v69
	v_sub_f32_e32 v9, v9, v10
	v_add_u32_e32 v120, 0x614, v117
	v_add_u32_e32 v119, 0x60c, v117
	ds_write2_b32 v120, v14, v9 offset1:1
	s_waitcnt vmcnt(2)
	v_add_f32_e32 v9, v57, v43
	v_add_f32_e32 v10, v39, v45
	ds_write2_b32 v119, v15, v55 offset1:1
	v_add_f32_e32 v14, v51, v47
	v_add_f32_e32 v15, v9, v10
	v_sub_f32_e32 v62, v46, v40
	v_sub_f32_e32 v63, v48, v52
	;; [unrolled: 1-line block ×5, first 2 shown]
	v_add_f32_e32 v14, v15, v14
	v_sub_f32_e32 v15, v44, v58
	v_add_f32_e32 v64, v62, v63
	v_sub_f32_e32 v69, v63, v62
	v_sub_f32_e32 v63, v15, v63
	;; [unrolled: 1-line block ×3, first 2 shown]
	v_add_f32_e32 v15, v15, v64
	v_add_f32_e32 v64, v14, v41
	v_mov_b32_e32 v70, v64
	v_fmac_f32_e32 v70, 0xbf955555, v14
	v_mul_f32_e32 v10, 0x3d64c772, v10
	v_mul_f32_e32 v14, 0xbf08b237, v69
	v_fma_f32 v69, v55, s6, -v10
	v_fmac_f32_e32 v10, 0x3f4a47b2, v9
	v_fma_f32 v71, v62, s8, -v14
	v_fmac_f32_e32 v14, 0x3eae86e6, v63
	v_add_f32_e32 v72, v10, v70
	v_fmac_f32_e32 v14, 0x3ee1c552, v15
	v_add_f32_e32 v10, v72, v14
	v_add_u32_e32 v41, 0xc08, v117
	ds_write2_b32 v41, v64, v10 offset1:1
	v_mul_f32_e32 v9, 0x3f4a47b2, v9
	v_mul_f32_e32 v10, 0x3f5ff5aa, v62
	v_fma_f32 v9, v55, s7, -v9
	v_fma_f32 v10, v63, s9, -v10
	v_add_f32_e32 v55, v69, v70
	v_add_f32_e32 v9, v9, v70
	v_fmac_f32_e32 v71, 0x3ee1c552, v15
	v_fmac_f32_e32 v10, 0x3ee1c552, v15
	v_add_f32_e32 v15, v9, v10
	v_sub_f32_e32 v62, v55, v71
	v_add_u32_e32 v121, 0xc10, v117
	ds_write2_b32 v121, v15, v62 offset1:1
	v_add_f32_e32 v15, v55, v71
	v_sub_f32_e32 v9, v9, v10
	v_add_u32_e32 v122, 0xc18, v117
	ds_write2_b32 v122, v15, v9 offset1:1
	s_waitcnt vmcnt(1)
	v_add_f32_e32 v9, v27, v33
	v_add_f32_e32 v10, v21, v35
	v_add_f32_e32 v15, v17, v37
	v_add_f32_e32 v55, v9, v10
	v_sub_f32_e32 v63, v36, v22
	v_sub_f32_e32 v64, v38, v18
	;; [unrolled: 1-line block ×5, first 2 shown]
	v_add_f32_e32 v15, v55, v15
	v_sub_f32_e32 v55, v34, v28
	v_add_f32_e32 v69, v63, v64
	v_sub_f32_e32 v70, v64, v63
	v_sub_f32_e32 v64, v55, v64
	;; [unrolled: 1-line block ×3, first 2 shown]
	v_add_f32_e32 v55, v55, v69
	v_add_f32_e32 v69, v15, v29
	v_mov_b32_e32 v71, v69
	v_fmac_f32_e32 v71, 0xbf955555, v15
	v_mul_f32_e32 v10, 0x3d64c772, v10
	v_mul_f32_e32 v15, 0xbf08b237, v70
	v_fma_f32 v70, v62, s6, -v10
	v_fmac_f32_e32 v10, 0x3f4a47b2, v9
	v_fma_f32 v75, v63, s8, -v15
	v_fmac_f32_e32 v15, 0x3eae86e6, v64
	v_add_f32_e32 v76, v10, v71
	v_fmac_f32_e32 v15, 0x3ee1c552, v55
	v_add_f32_e32 v10, v76, v15
	v_add_u32_e32 v29, 0x120c, v117
	ds_write2_b32 v29, v69, v10 offset1:1
	v_mul_f32_e32 v9, 0x3f4a47b2, v9
	v_mul_f32_e32 v10, 0x3f5ff5aa, v63
	v_fma_f32 v9, v62, s7, -v9
	v_fma_f32 v10, v64, s9, -v10
	v_add_f32_e32 v62, v70, v71
	v_add_f32_e32 v9, v9, v71
	v_fmac_f32_e32 v75, 0x3ee1c552, v55
	v_fmac_f32_e32 v10, 0x3ee1c552, v55
	v_add_f32_e32 v55, v9, v10
	v_sub_f32_e32 v63, v62, v75
	v_add_u32_e32 v123, 0x1214, v117
	ds_write2_b32 v123, v55, v63 offset1:1
	v_add_f32_e32 v55, v62, v75
	v_sub_f32_e32 v9, v9, v10
	v_add_u32_e32 v124, 0x121c, v117
	ds_write2_b32 v124, v55, v9 offset1:1
	s_waitcnt vmcnt(0)
	v_add_f32_e32 v9, v7, v23
	v_add_f32_e32 v10, v5, v25
	;; [unrolled: 1-line block ×4, first 2 shown]
	v_sub_f32_e32 v64, v26, v6
	v_sub_f32_e32 v69, v32, v12
	;; [unrolled: 1-line block ×5, first 2 shown]
	v_add_f32_e32 v55, v62, v55
	v_sub_f32_e32 v62, v24, v8
	v_add_f32_e32 v70, v64, v69
	v_sub_f32_e32 v71, v69, v64
	v_sub_f32_e32 v69, v62, v69
	;; [unrolled: 1-line block ×3, first 2 shown]
	v_add_f32_e32 v62, v62, v70
	v_add_f32_e32 v70, v55, v19
	v_mov_b32_e32 v75, v70
	v_mul_f32_e32 v10, 0x3d64c772, v10
	v_fmac_f32_e32 v75, 0xbf955555, v55
	v_mul_f32_e32 v55, 0xbf08b237, v71
	v_fma_f32 v71, v63, s6, -v10
	v_fmac_f32_e32 v10, 0x3f4a47b2, v9
	v_mul_f32_e32 v9, 0x3f4a47b2, v9
	v_fma_f32 v9, v63, s7, -v9
	v_mul_f32_e32 v63, 0x3f5ff5aa, v64
	v_fma_f32 v79, v64, s8, -v55
	v_fmac_f32_e32 v55, 0x3eae86e6, v69
	v_fma_f32 v63, v69, s9, -v63
	v_add_f32_e32 v10, v10, v75
	v_fmac_f32_e32 v55, 0x3ee1c552, v62
	v_add_f32_e32 v64, v71, v75
	v_add_f32_e32 v69, v9, v75
	v_fmac_f32_e32 v79, 0x3ee1c552, v62
	v_fmac_f32_e32 v63, 0x3ee1c552, v62
	v_add_f32_e32 v80, v10, v55
	v_add_u32_e32 v19, 0x1810, v117
	v_sub_f32_e32 v10, v10, v55
	v_add_f32_e32 v55, v69, v63
	v_sub_f32_e32 v62, v64, v79
	v_add_u32_e32 v125, 0x1818, v117
	v_sub_f32_e32 v16, v61, v16
	v_sub_f32_e32 v0, v0, v13
	ds_write2_b32 v19, v70, v80 offset1:1
	v_sub_f32_e32 v9, v69, v63
	ds_write2_b32 v125, v55, v62 offset1:1
	v_sub_f32_e32 v13, v72, v14
	v_sub_f32_e32 v14, v76, v15
	v_add_f32_e32 v15, v64, v79
	ds_write_b32 v117, v16 offset:24
	ds_write_b32 v117, v0 offset:1564
	;; [unrolled: 1-line block ×4, first 2 shown]
	v_add_u32_e32 v126, 0x1820, v117
	v_lshl_add_u32 v0, v116, 2, 0
	ds_write2_b32 v126, v15, v9 offset1:1
	s_load_dwordx2 s[2:3], s[2:3], 0x0
	ds_write_b32 v117, v10 offset:6184
	s_waitcnt lgkmcnt(0)
	; wave barrier
	s_waitcnt lgkmcnt(0)
	v_add_u32_e32 v136, 0x400, v0
	v_add_u32_e32 v137, 0x600, v0
	;; [unrolled: 1-line block ×10, first 2 shown]
	ds_read_b32 v55, v0 offset:7440
	ds_read2_b32 v[15:16], v0 offset1:55
	ds_read2_b32 v[13:14], v0 offset0:110 offset1:175
	ds_read2_b32 v[114:115], v136 offset0:94 offset1:149
	;; [unrolled: 1-line block ×13, first 2 shown]
	ds_read2_b32 v[88:89], v130 offset1:55
	ds_read2_b32 v[79:80], v131 offset0:94 offset1:149
	v_cmp_gt_u32_e64 s[0:1], 10, v116
                                        ; implicit-def: $vgpr129
                                        ; implicit-def: $vgpr71
                                        ; implicit-def: $vgpr69
                                        ; implicit-def: $vgpr62
                                        ; implicit-def: $vgpr64
	s_and_saveexec_b64 s[4:5], s[0:1]
	s_cbranch_execz .LBB0_15
; %bb.14:
	v_add_u32_e32 v61, 0xd00, v0
	ds_read2_b32 v[9:10], v132 offset0:37 offset1:212
	ds_read2_b32 v[71:72], v127 offset0:3 offset1:178
	;; [unrolled: 1-line block ×3, first 2 shown]
	v_add_u32_e32 v61, 0x1200, v0
	ds_read2_b32 v[63:64], v61 offset0:63 offset1:238
	ds_read2_b32 v[61:62], v131 offset0:29 offset1:204
	ds_read_b32 v129, v0 offset:7660
.LBB0_15:
	s_or_b64 exec, exec, s[4:5]
	v_add_f32_e32 v28, v28, v34
	v_add_f32_e32 v22, v22, v36
	v_sub_f32_e32 v27, v33, v27
	v_add_f32_e32 v18, v18, v38
	v_add_f32_e32 v33, v28, v22
	;; [unrolled: 1-line block ×4, first 2 shown]
	v_sub_f32_e32 v21, v35, v21
	v_sub_f32_e32 v17, v37, v17
	;; [unrolled: 1-line block ×5, first 2 shown]
	v_add_f32_e32 v18, v33, v18
	v_add_f32_e32 v68, v68, v101
	v_sub_f32_e32 v67, v100, v67
	v_add_f32_e32 v100, v60, v78
	v_add_f32_e32 v35, v21, v17
	v_sub_f32_e32 v36, v17, v21
	v_add_f32_e32 v30, v18, v30
	v_sub_f32_e32 v59, v59, v106
	v_sub_f32_e32 v77, v104, v77
	;; [unrolled: 1-line block ×5, first 2 shown]
	v_add_f32_e32 v68, v100, v68
	v_sub_f32_e32 v17, v27, v17
	v_sub_f32_e32 v21, v21, v27
	v_add_f32_e32 v27, v27, v35
	v_mul_f32_e32 v22, 0x3d64c772, v22
	v_mul_f32_e32 v35, 0xbf08b237, v36
	v_mov_b32_e32 v37, v30
	v_add_f32_e32 v104, v77, v67
	v_sub_f32_e32 v105, v67, v77
	v_sub_f32_e32 v77, v77, v59
	v_add_f32_e32 v87, v68, v87
	v_mul_f32_e32 v36, 0x3f5ff5aa, v21
	v_fmac_f32_e32 v37, 0xbf955555, v18
	v_fma_f32 v18, v34, s6, -v22
	v_fmac_f32_e32 v22, 0x3f4a47b2, v28
	v_fma_f32 v21, v21, s8, -v35
	v_fmac_f32_e32 v35, 0x3eae86e6, v17
	v_sub_f32_e32 v67, v59, v67
	v_add_f32_e32 v59, v59, v104
	v_mul_f32_e32 v100, 0x3f4a47b2, v60
	v_mul_f32_e32 v78, 0x3d64c772, v78
	;; [unrolled: 1-line block ×4, first 2 shown]
	v_mov_b32_e32 v106, v87
	v_add_f32_e32 v54, v54, v74
	v_add_f32_e32 v50, v50, v84
	;; [unrolled: 1-line block ×4, first 2 shown]
	v_mul_f32_e32 v33, 0x3f4a47b2, v28
	v_fma_f32 v17, v17, s9, -v36
	v_add_f32_e32 v22, v22, v37
	v_add_f32_e32 v18, v18, v37
	v_fmac_f32_e32 v35, 0x3ee1c552, v27
	v_fmac_f32_e32 v21, 0x3ee1c552, v27
	v_add_f32_e32 v8, v8, v24
	v_add_f32_e32 v6, v6, v26
	v_fmac_f32_e32 v106, 0xbf955555, v68
	v_fma_f32 v68, v101, s6, -v78
	v_fmac_f32_e32 v78, 0x3f4a47b2, v60
	v_fma_f32 v60, v101, s7, -v100
	v_fma_f32 v77, v77, s8, -v104
	v_fmac_f32_e32 v104, 0x3eae86e6, v67
	v_fma_f32 v67, v67, s9, -v105
	v_sub_f32_e32 v53, v73, v53
	v_add_f32_e32 v66, v82, v66
	v_add_f32_e32 v73, v54, v50
	v_sub_f32_e32 v39, v45, v39
	v_add_f32_e32 v45, v52, v48
	v_sub_f32_e32 v46, v47, v51
	v_add_f32_e32 v47, v44, v40
	v_fma_f32 v28, v34, s7, -v33
	v_fmac_f32_e32 v17, 0x3ee1c552, v27
	v_sub_f32_e32 v27, v22, v35
	v_add_f32_e32 v34, v21, v18
	v_sub_f32_e32 v18, v18, v21
	v_add_f32_e32 v21, v35, v22
	v_add_f32_e32 v12, v12, v32
	v_add_f32_e32 v22, v8, v6
	v_add_f32_e32 v78, v78, v106
	v_add_f32_e32 v68, v68, v106
	v_add_f32_e32 v60, v60, v106
	v_fmac_f32_e32 v104, 0x3ee1c552, v59
	v_fmac_f32_e32 v77, 0x3ee1c552, v59
	;; [unrolled: 1-line block ×3, first 2 shown]
	v_sub_f32_e32 v49, v83, v49
	v_sub_f32_e32 v65, v65, v81
	;; [unrolled: 1-line block ×5, first 2 shown]
	v_add_f32_e32 v66, v73, v66
	v_sub_f32_e32 v43, v43, v57
	v_sub_f32_e32 v48, v40, v44
	;; [unrolled: 1-line block ×4, first 2 shown]
	v_add_f32_e32 v45, v47, v45
	v_sub_f32_e32 v7, v23, v7
	v_sub_f32_e32 v5, v25, v5
	;; [unrolled: 1-line block ×6, first 2 shown]
	v_add_f32_e32 v12, v22, v12
	v_sub_f32_e32 v59, v78, v104
	v_sub_f32_e32 v100, v60, v67
	v_add_f32_e32 v101, v77, v68
	v_sub_f32_e32 v68, v68, v77
	v_add_f32_e32 v60, v67, v60
	v_add_f32_e32 v67, v104, v78
	;; [unrolled: 1-line block ×3, first 2 shown]
	v_sub_f32_e32 v78, v65, v49
	v_add_f32_e32 v56, v66, v56
	v_add_f32_e32 v51, v39, v46
	v_sub_f32_e32 v52, v46, v39
	v_sub_f32_e32 v39, v39, v43
	v_add_f32_e32 v42, v45, v42
	v_add_f32_e32 v24, v5, v11
	v_sub_f32_e32 v25, v11, v5
	v_add_f32_e32 v20, v12, v20
	v_sub_f32_e32 v65, v53, v65
	v_sub_f32_e32 v49, v49, v53
	v_add_f32_e32 v53, v53, v77
	v_mul_f32_e32 v50, 0x3d64c772, v50
	v_mul_f32_e32 v77, 0xbf08b237, v78
	v_mov_b32_e32 v81, v56
	v_sub_f32_e32 v46, v43, v46
	v_add_f32_e32 v43, v43, v51
	v_mul_f32_e32 v47, 0x3f4a47b2, v44
	v_mul_f32_e32 v40, 0x3d64c772, v40
	v_mul_f32_e32 v51, 0xbf08b237, v52
	v_mul_f32_e32 v52, 0x3f5ff5aa, v39
	v_mov_b32_e32 v57, v42
	v_sub_f32_e32 v11, v7, v11
	v_sub_f32_e32 v5, v5, v7
	v_add_f32_e32 v7, v7, v24
	v_mul_f32_e32 v6, 0x3d64c772, v6
	v_mul_f32_e32 v24, 0xbf08b237, v25
	v_mov_b32_e32 v26, v20
	v_mul_f32_e32 v73, 0x3f4a47b2, v54
	v_mul_f32_e32 v78, 0x3f5ff5aa, v49
	v_fmac_f32_e32 v81, 0xbf955555, v66
	v_fma_f32 v66, v74, s6, -v50
	v_fmac_f32_e32 v50, 0x3f4a47b2, v54
	v_fma_f32 v49, v49, s8, -v77
	v_fmac_f32_e32 v77, 0x3eae86e6, v65
	v_fmac_f32_e32 v57, 0xbf955555, v45
	v_fma_f32 v45, v48, s6, -v40
	v_fmac_f32_e32 v40, 0x3f4a47b2, v44
	v_fma_f32 v44, v48, s7, -v47
	v_fma_f32 v39, v39, s8, -v51
	v_fmac_f32_e32 v51, 0x3eae86e6, v46
	v_fma_f32 v46, v46, s9, -v52
	v_mul_f32_e32 v22, 0x3f4a47b2, v8
	v_mul_f32_e32 v25, 0x3f5ff5aa, v5
	v_fmac_f32_e32 v26, 0xbf955555, v12
	v_fma_f32 v12, v23, s6, -v6
	v_fmac_f32_e32 v6, 0x3f4a47b2, v8
	v_fma_f32 v5, v5, s8, -v24
	;; [unrolled: 2-line block ×3, first 2 shown]
	v_fma_f32 v65, v65, s9, -v78
	v_add_f32_e32 v50, v50, v81
	v_add_f32_e32 v66, v66, v81
	v_fmac_f32_e32 v77, 0x3ee1c552, v53
	v_fmac_f32_e32 v49, 0x3ee1c552, v53
	v_add_f32_e32 v40, v40, v57
	v_add_f32_e32 v45, v45, v57
	;; [unrolled: 1-line block ×3, first 2 shown]
	v_fmac_f32_e32 v51, 0x3ee1c552, v43
	v_fmac_f32_e32 v39, 0x3ee1c552, v43
	;; [unrolled: 1-line block ×3, first 2 shown]
	v_add_f32_e32 v28, v28, v37
	v_fma_f32 v8, v23, s7, -v22
	v_fma_f32 v11, v11, s9, -v25
	v_add_f32_e32 v6, v6, v26
	v_add_f32_e32 v12, v12, v26
	v_fmac_f32_e32 v24, 0x3ee1c552, v7
	v_fmac_f32_e32 v5, 0x3ee1c552, v7
	v_add_f32_e32 v54, v54, v81
	v_fmac_f32_e32 v65, 0x3ee1c552, v53
	v_sub_f32_e32 v53, v50, v77
	v_add_f32_e32 v74, v49, v66
	v_sub_f32_e32 v49, v66, v49
	v_add_f32_e32 v50, v77, v50
	v_sub_f32_e32 v43, v40, v51
	v_sub_f32_e32 v47, v44, v46
	v_add_f32_e32 v48, v39, v45
	v_sub_f32_e32 v39, v45, v39
	v_add_f32_e32 v44, v46, v44
	v_add_f32_e32 v40, v51, v40
	v_sub_f32_e32 v33, v28, v17
	v_add_f32_e32 v8, v8, v26
	v_fmac_f32_e32 v11, 0x3ee1c552, v7
	v_sub_f32_e32 v7, v6, v24
	v_add_f32_e32 v23, v5, v12
	v_sub_f32_e32 v12, v12, v5
	v_sub_f32_e32 v73, v54, v65
	v_add_f32_e32 v54, v65, v54
	v_add_f32_e32 v17, v17, v28
	v_sub_f32_e32 v22, v8, v11
	v_add_f32_e32 v5, v11, v8
	v_add_f32_e32 v6, v24, v6
	s_waitcnt lgkmcnt(0)
	; wave barrier
	s_waitcnt lgkmcnt(0)
	ds_write2_b32 v117, v87, v59 offset1:1
	ds_write2_b32 v117, v100, v101 offset0:2 offset1:3
	ds_write2_b32 v117, v68, v60 offset0:4 offset1:5
	ds_write_b32 v117, v67 offset:24
	ds_write2_b32 v118, v56, v53 offset1:1
	ds_write2_b32 v119, v73, v74 offset1:1
	ds_write2_b32 v120, v49, v54 offset1:1
	ds_write_b32 v117, v50 offset:1564
	ds_write2_b32 v41, v42, v43 offset1:1
	ds_write2_b32 v121, v47, v48 offset1:1
	ds_write2_b32 v122, v39, v44 offset1:1
	;; [unrolled: 4-line block ×4, first 2 shown]
	ds_write_b32 v117, v6 offset:6184
	s_waitcnt lgkmcnt(0)
	; wave barrier
	s_waitcnt lgkmcnt(0)
	ds_read2_b32 v[11:12], v0 offset1:55
	ds_read2_b32 v[7:8], v0 offset0:110 offset1:175
	ds_read2_b32 v[51:52], v136 offset0:94 offset1:149
	;; [unrolled: 1-line block ×13, first 2 shown]
	ds_read2_b32 v[31:32], v130 offset1:55
	ds_read2_b32 v[27:28], v131 offset0:94 offset1:149
	ds_read_b32 v53, v0 offset:7440
                                        ; implicit-def: $vgpr23
                                        ; implicit-def: $vgpr19
                                        ; implicit-def: $vgpr130
                                        ; implicit-def: $vgpr18
                                        ; implicit-def: $vgpr22
	s_and_saveexec_b64 s[4:5], s[0:1]
	s_cbranch_execz .LBB0_17
; %bb.16:
	v_add_u32_e32 v17, 0x800, v0
	ds_read2_b32 v[23:24], v17 offset0:3 offset1:178
	v_add_u32_e32 v17, 0xd00, v0
	ds_read2_b32 v[19:20], v17 offset0:33 offset1:208
	v_add_u32_e32 v17, 0x1200, v0
	v_add_u32_e32 v5, 0x200, v0
	ds_read2_b32 v[21:22], v17 offset0:63 offset1:238
	v_add_u32_e32 v17, 0x1800, v0
	ds_read2_b32 v[5:6], v5 offset0:37 offset1:212
	ds_read2_b32 v[17:18], v17 offset0:29 offset1:204
	ds_read_b32 v130, v0 offset:7660
.LBB0_17:
	s_or_b64 exec, exec, s[4:5]
	v_mov_b32_e32 v60, 37
	v_mul_lo_u16_sdwa v54, v116, v60 dst_sel:DWORD dst_unused:UNUSED_PAD src0_sel:BYTE_0 src1_sel:DWORD
	v_sub_u16_sdwa v56, v116, v54 dst_sel:DWORD dst_unused:UNUSED_PAD src0_sel:DWORD src1_sel:BYTE_1
	v_lshrrev_b16_e32 v56, 1, v56
	v_and_b32_e32 v56, 0x7f, v56
	v_add_u16_sdwa v54, v56, v54 dst_sel:DWORD dst_unused:UNUSED_PAD src0_sel:DWORD src1_sel:BYTE_1
	v_lshrrev_b16_e32 v123, 2, v54
	v_mul_lo_u16_e32 v54, 7, v123
	v_sub_u16_e32 v124, v116, v54
	v_mov_b32_e32 v65, 10
	v_mul_u32_u24_sdwa v54, v124, v65 dst_sel:DWORD dst_unused:UNUSED_PAD src0_sel:BYTE_0 src1_sel:DWORD
	v_lshlrev_b32_e32 v54, 3, v54
	global_load_dwordx4 v[56:59], v54, s[12:13]
	global_load_dwordx4 v[81:84], v54, s[12:13] offset:16
	global_load_dwordx4 v[131:134], v54, s[12:13] offset:48
	;; [unrolled: 1-line block ×4, first 2 shown]
	v_add_u32_e32 v73, 55, v116
	v_mul_lo_u16_sdwa v66, v73, v60 dst_sel:DWORD dst_unused:UNUSED_PAD src0_sel:BYTE_0 src1_sel:DWORD
	v_sub_u16_sdwa v67, v73, v66 dst_sel:DWORD dst_unused:UNUSED_PAD src0_sel:DWORD src1_sel:BYTE_1
	v_lshrrev_b16_e32 v67, 1, v67
	v_and_b32_e32 v67, 0x7f, v67
	v_add_u16_sdwa v66, v67, v66 dst_sel:DWORD dst_unused:UNUSED_PAD src0_sel:DWORD src1_sel:BYTE_1
	v_lshrrev_b16_e32 v125, 2, v66
	v_mul_lo_u16_e32 v66, 7, v125
	v_sub_u16_e32 v126, v73, v66
	v_mul_u32_u24_sdwa v54, v126, v65 dst_sel:DWORD dst_unused:UNUSED_PAD src0_sel:BYTE_0 src1_sel:DWORD
	v_lshlrev_b32_e32 v67, 3, v54
	global_load_dwordx4 v[143:146], v67, s[12:13]
	global_load_dwordx4 v[147:150], v67, s[12:13] offset:16
	global_load_dwordx4 v[151:154], v67, s[12:13] offset:32
	v_add_u32_e32 v66, 0x6e, v116
	v_mul_lo_u16_sdwa v68, v66, v60 dst_sel:DWORD dst_unused:UNUSED_PAD src0_sel:BYTE_0 src1_sel:DWORD
	v_sub_u16_sdwa v74, v66, v68 dst_sel:DWORD dst_unused:UNUSED_PAD src0_sel:DWORD src1_sel:BYTE_1
	v_lshrrev_b16_e32 v74, 1, v74
	v_and_b32_e32 v74, 0x7f, v74
	v_add_u32_e32 v54, 0xa5, v116
	v_add_u16_sdwa v68, v74, v68 dst_sel:DWORD dst_unused:UNUSED_PAD src0_sel:DWORD src1_sel:BYTE_1
	v_lshrrev_b16_e32 v127, 2, v68
	v_mul_lo_u16_e32 v68, 7, v127
	v_sub_u16_e32 v128, v66, v68
	v_mul_u32_u24_sdwa v68, v128, v65 dst_sel:DWORD dst_unused:UNUSED_PAD src0_sel:BYTE_0 src1_sel:DWORD
	v_lshlrev_b32_e32 v68, 3, v68
	global_load_dwordx4 v[155:158], v67, s[12:13] offset:48
	global_load_dwordx4 v[159:162], v67, s[12:13] offset:64
	;; [unrolled: 1-line block ×5, first 2 shown]
	global_load_dwordx4 v[175:178], v68, s[12:13]
	s_mov_b32 s8, 0x3f575c64
	s_mov_b32 s6, 0x3ed4b147
	;; [unrolled: 1-line block ×5, first 2 shown]
	s_waitcnt vmcnt(13)
	v_mul_f32_e32 v120, v14, v57
	s_waitcnt lgkmcnt(14)
	v_mul_f32_e32 v74, v8, v57
	v_fmac_f32_e32 v120, v8, v56
	s_waitcnt vmcnt(9)
	v_mul_f32_e32 v118, v76, v140
	v_mul_lo_u16_sdwa v8, v54, v60 dst_sel:DWORD dst_unused:UNUSED_PAD src0_sel:BYTE_0 src1_sel:DWORD
	v_mul_f32_e32 v57, v51, v59
	v_mul_f32_e32 v117, v114, v59
	s_waitcnt lgkmcnt(13)
	v_mul_f32_e32 v59, v38, v82
	v_mul_f32_e32 v106, v95, v82
	s_waitcnt lgkmcnt(11)
	;; [unrolled: 3-line block ×5, first 2 shown]
	v_mul_f32_e32 v134, v26, v140
	v_fmac_f32_e32 v118, v26, v139
	v_sub_u16_sdwa v26, v54, v8 dst_sel:DWORD dst_unused:UNUSED_PAD src0_sel:DWORD src1_sel:BYTE_1
	v_lshrrev_b16_e32 v26, 1, v26
	v_and_b32_e32 v26, 0x7f, v26
	v_add_u16_sdwa v8, v26, v8 dst_sel:DWORD dst_unused:UNUSED_PAD src0_sel:DWORD src1_sel:BYTE_1
	v_lshrrev_b16_e32 v8, 2, v8
	v_mul_lo_u16_e32 v26, 7, v8
	v_sub_u16_e32 v26, v54, v26
	v_fmac_f32_e32 v101, v30, v131
	v_mul_u32_u24_sdwa v30, v26, v65 dst_sel:DWORD dst_unused:UNUSED_PAD src0_sel:BYTE_0 src1_sel:DWORD
	v_mul_f32_e32 v105, v47, v138
	v_fma_f32 v122, v14, v56, -v74
	v_fma_f32 v119, v114, v58, -v57
	v_fmac_f32_e32 v117, v51, v58
	v_fma_f32 v114, v95, v81, -v59
	global_load_dwordx4 v[56:59], v68, s[12:13] offset:64
	v_lshlrev_b32_e32 v30, 3, v30
	v_mul_f32_e32 v77, v49, v84
	v_mul_f32_e32 v100, v112, v84
	;; [unrolled: 1-line block ×3, first 2 shown]
	v_fma_f32 v87, v91, v135, -v78
	v_fma_f32 v91, v110, v137, -v105
	;; [unrolled: 1-line block ×4, first 2 shown]
	v_fmac_f32_e32 v107, v45, v133
	v_fma_f32 v110, v76, v139, -v134
	global_load_dwordx4 v[131:134], v30, s[12:13]
	s_waitcnt lgkmcnt(6)
	v_mul_f32_e32 v138, v43, v142
	v_mul_f32_e32 v121, v102, v142
	s_waitcnt vmcnt(10) lgkmcnt(5)
	v_mul_f32_e32 v140, v41, v144
	v_fma_f32 v104, v112, v83, -v77
	v_fmac_f32_e32 v82, v34, v135
	v_fmac_f32_e32 v84, v47, v137
	v_fma_f32 v112, v102, v141, -v138
	v_fmac_f32_e32 v121, v43, v141
	v_fma_f32 v78, v98, v143, -v140
	v_mul_f32_e32 v14, v52, v146
	global_load_dwordx4 v[135:138], v30, s[12:13] offset:32
	global_load_dwordx4 v[139:142], v30, s[12:13] offset:16
	v_mul_f32_e32 v67, v98, v144
	v_fma_f32 v95, v115, v145, -v14
	v_mul_f32_e32 v98, v115, v146
	s_waitcnt vmcnt(11) lgkmcnt(4)
	v_mul_f32_e32 v14, v39, v148
	v_fmac_f32_e32 v106, v38, v81
	v_fmac_f32_e32 v100, v49, v83
	;; [unrolled: 1-line block ×4, first 2 shown]
	v_fma_f32 v81, v96, v147, -v14
	v_mul_f32_e32 v83, v96, v148
	v_mul_f32_e32 v14, v50, v150
	;; [unrolled: 1-line block ×3, first 2 shown]
	global_load_dwordx4 v[143:146], v30, s[12:13] offset:48
	v_fmac_f32_e32 v83, v39, v147
	v_fma_f32 v68, v113, v149, -v14
	v_fmac_f32_e32 v74, v50, v149
	global_load_dwordx4 v[147:150], v30, s[12:13] offset:64
	s_waitcnt vmcnt(12) lgkmcnt(3)
	v_mul_f32_e32 v14, v35, v152
	v_fma_f32 v43, v92, v151, -v14
	v_mul_f32_e32 v14, v48, v154
	v_fma_f32 v47, v111, v153, -v14
	s_waitcnt vmcnt(11) lgkmcnt(2)
	v_mul_f32_e32 v14, v31, v156
	v_fma_f32 v76, v88, v155, -v14
	v_mul_f32_e32 v14, v46, v158
	v_fma_f32 v86, v109, v157, -v14
	s_waitcnt vmcnt(10) lgkmcnt(1)
	v_mul_f32_e32 v14, v27, v160
	v_mul_f32_e32 v45, v92, v152
	v_fma_f32 v92, v79, v159, -v14
	v_mul_f32_e32 v14, v44, v162
	v_fma_f32 v96, v103, v161, -v14
	v_mul_f32_e32 v102, v103, v162
	s_waitcnt vmcnt(6)
	v_mul_f32_e32 v14, v42, v176
	v_fmac_f32_e32 v102, v44, v161
	v_fma_f32 v44, v99, v175, -v14
	v_mul_f32_e32 v14, v37, v178
	v_mul_f32_e32 v79, v79, v160
	v_fma_f32 v41, v94, v177, -v14
	v_mul_f32_e32 v14, v40, v172
	v_mul_f32_e32 v77, v88, v156
	v_fmac_f32_e32 v79, v27, v159
	v_fma_f32 v38, v97, v171, -v14
	v_mul_f32_e32 v39, v97, v172
	v_mul_f32_e32 v14, v33, v174
	;; [unrolled: 1-line block ×3, first 2 shown]
	v_fmac_f32_e32 v45, v35, v151
	v_fmac_f32_e32 v77, v31, v155
	;; [unrolled: 1-line block ×3, first 2 shown]
	v_fma_f32 v35, v90, v173, -v14
	v_mul_f32_e32 v14, v36, v168
	v_fmac_f32_e32 v27, v36, v167
	v_mul_f32_e32 v31, v85, v170
	v_mul_f32_e32 v36, v89, v164
	;; [unrolled: 1-line block ×5, first 2 shown]
	v_fmac_f32_e32 v31, v29, v169
	v_mul_f32_e32 v29, v32, v164
	v_fmac_f32_e32 v36, v32, v163
	v_mul_f32_e32 v32, v25, v166
	v_fmac_f32_e32 v40, v25, v165
	s_waitcnt vmcnt(5)
	v_mul_f32_e32 v25, v28, v57
	v_mul_f32_e32 v49, v111, v154
	v_fmac_f32_e32 v88, v46, v157
	v_fma_f32 v46, v80, v56, -v25
	v_mul_f32_e32 v50, v80, v57
	s_waitcnt lgkmcnt(0)
	v_mul_f32_e32 v25, v53, v59
	v_fmac_f32_e32 v49, v48, v153
	v_mul_f32_e32 v48, v99, v176
	s_waitcnt vmcnt(4)
	v_mul_f32_e32 v65, v10, v132
	v_fmac_f32_e32 v50, v28, v56
	v_fma_f32 v28, v55, v58, -v25
	v_mul_f32_e32 v25, v6, v132
	v_fmac_f32_e32 v65, v6, v131
	v_mul_f32_e32 v6, v23, v134
	v_fmac_f32_e32 v48, v42, v175
	v_mul_f32_e32 v42, v94, v178
	v_fma_f32 v56, v71, v133, -v6
	v_fmac_f32_e32 v42, v37, v177
	v_mul_f32_e32 v37, v90, v174
	s_waitcnt vmcnt(2)
	v_mul_f32_e32 v6, v24, v140
	v_mul_f32_e32 v34, v69, v142
	v_fma_f32 v60, v10, v131, -v25
	v_fma_f32 v52, v72, v139, -v6
	v_mul_f32_e32 v6, v19, v142
	v_fmac_f32_e32 v34, v19, v141
	v_mul_f32_e32 v19, v70, v136
	v_mul_f32_e32 v10, v21, v138
	v_fmac_f32_e32 v37, v33, v173
	v_fma_f32 v33, v69, v141, -v6
	v_mul_f32_e32 v6, v20, v136
	v_fmac_f32_e32 v19, v20, v135
	v_fma_f32 v20, v63, v137, -v10
	v_mul_f32_e32 v25, v63, v138
	s_waitcnt vmcnt(1)
	v_mul_f32_e32 v10, v22, v144
	v_fma_f32 v32, v75, v165, -v32
	v_mul_f32_e32 v75, v55, v59
	v_fmac_f32_e32 v25, v21, v137
	v_fma_f32 v21, v64, v143, -v10
	v_mul_f32_e32 v51, v64, v144
	v_mul_f32_e32 v10, v17, v146
	s_waitcnt vmcnt(0)
	v_mul_f32_e32 v59, v62, v148
	v_mul_f32_e32 v57, v71, v134
	v_fmac_f32_e32 v51, v22, v143
	v_fma_f32 v22, v61, v145, -v10
	v_mul_f32_e32 v55, v61, v146
	v_mul_f32_e32 v10, v18, v148
	v_fmac_f32_e32 v59, v18, v147
	v_sub_f32_e32 v18, v120, v121
	v_fmac_f32_e32 v75, v53, v58
	v_fmac_f32_e32 v57, v23, v133
	v_mul_f32_e32 v53, v72, v140
	v_fmac_f32_e32 v55, v17, v145
	v_add_f32_e32 v17, v122, v112
	v_mul_f32_e32 v23, 0xbf0a6770, v18
	v_mul_f32_e32 v63, 0xbf68dda4, v18
	;; [unrolled: 1-line block ×5, first 2 shown]
	v_fmac_f32_e32 v53, v24, v139
	v_fma_f32 v6, v70, v135, -v6
	v_fma_f32 v58, v62, v147, -v10
	v_mul_f32_e32 v10, v130, v150
	v_fma_f32 v24, v17, s8, -v23
	v_fmac_f32_e32 v23, 0x3f575c64, v17
	v_fma_f32 v64, v17, s6, -v63
	v_fmac_f32_e32 v63, 0x3ed4b147, v17
	;; [unrolled: 2-line block ×5, first 2 shown]
	v_fma_f32 v61, v129, v149, -v10
	v_add_f32_e32 v10, v15, v122
	v_add_f32_e32 v24, v15, v24
	;; [unrolled: 1-line block ×11, first 2 shown]
	v_sub_f32_e32 v18, v117, v118
	v_fma_f32 v30, v85, v169, -v30
	v_add_f32_e32 v17, v119, v110
	v_mul_f32_e32 v85, 0xbf68dda4, v18
	v_fma_f32 v29, v89, v163, -v29
	v_fma_f32 v89, v17, s6, -v85
	v_fmac_f32_e32 v85, 0x3ed4b147, v17
	v_add_f32_e32 v23, v85, v23
	v_mul_f32_e32 v85, 0xbf4178ce, v18
	v_add_f32_e32 v24, v89, v24
	v_fma_f32 v89, v17, s9, -v85
	v_fmac_f32_e32 v85, 0xbf27a4f4, v17
	v_add_f32_e32 v63, v85, v63
	v_mul_f32_e32 v85, 0x3e903f40, v18
	v_add_f32_e32 v64, v89, v64
	v_fma_f32 v89, v17, s14, -v85
	v_fmac_f32_e32 v85, 0xbf75a155, v17
	v_add_f32_e32 v69, v85, v69
	v_mul_f32_e32 v85, 0x3f7d64f0, v18
	v_add_f32_e32 v70, v89, v70
	v_fma_f32 v89, v17, s7, -v85
	v_fmac_f32_e32 v85, 0xbe11bafb, v17
	v_mul_f32_e32 v18, 0x3f0a6770, v18
	v_add_f32_e32 v71, v85, v71
	v_fma_f32 v85, v17, s8, -v18
	v_fmac_f32_e32 v18, 0x3f575c64, v17
	v_add_f32_e32 v15, v18, v15
	v_sub_f32_e32 v18, v106, v107
	v_add_f32_e32 v80, v85, v80
	v_add_f32_e32 v17, v114, v108
	v_mul_f32_e32 v85, 0xbf7d64f0, v18
	v_add_f32_e32 v72, v89, v72
	v_fma_f32 v89, v17, s7, -v85
	v_fmac_f32_e32 v85, 0xbe11bafb, v17
	v_add_f32_e32 v23, v85, v23
	v_mul_f32_e32 v85, 0x3e903f40, v18
	v_add_f32_e32 v24, v89, v24
	v_fma_f32 v89, v17, s14, -v85
	v_fmac_f32_e32 v85, 0xbf75a155, v17
	v_add_f32_e32 v63, v85, v63
	v_mul_f32_e32 v85, 0x3f68dda4, v18
	v_add_f32_e32 v64, v89, v64
	v_fma_f32 v89, v17, s6, -v85
	v_fmac_f32_e32 v85, 0x3ed4b147, v17
	v_add_f32_e32 v69, v85, v69
	v_mul_f32_e32 v85, 0xbf0a6770, v18
	v_add_f32_e32 v70, v89, v70
	v_fma_f32 v89, v17, s8, -v85
	v_fmac_f32_e32 v85, 0x3f575c64, v17
	v_mul_f32_e32 v18, 0xbf4178ce, v18
	v_add_f32_e32 v71, v85, v71
	v_fma_f32 v85, v17, s9, -v18
	v_fmac_f32_e32 v18, 0xbf27a4f4, v17
	v_add_f32_e32 v15, v18, v15
	v_sub_f32_e32 v18, v100, v101
	v_add_f32_e32 v80, v85, v80
	v_add_f32_e32 v17, v104, v105
	v_mul_f32_e32 v85, 0xbf4178ce, v18
	v_add_f32_e32 v72, v89, v72
	;; [unrolled: 27-line block ×3, first 2 shown]
	v_fma_f32 v89, v17, s14, -v85
	v_fmac_f32_e32 v85, 0xbf75a155, v17
	v_add_f32_e32 v23, v85, v23
	v_mul_f32_e32 v85, 0x3f0a6770, v18
	v_add_f32_e32 v24, v89, v24
	v_fma_f32 v89, v17, s8, -v85
	v_fmac_f32_e32 v85, 0x3f575c64, v17
	v_add_f32_e32 v63, v85, v63
	v_mul_f32_e32 v85, 0xbf4178ce, v18
	v_add_f32_e32 v64, v89, v64
	;; [unrolled: 5-line block ×3, first 2 shown]
	v_fma_f32 v89, v17, s6, -v85
	v_fmac_f32_e32 v85, 0x3ed4b147, v17
	v_mul_f32_e32 v18, 0xbf7d64f0, v18
	v_add_f32_e32 v71, v85, v71
	v_fma_f32 v85, v17, s7, -v18
	v_add_f32_e32 v85, v85, v80
	v_fmac_f32_e32 v18, 0xbe11bafb, v17
	v_sub_f32_e32 v80, v67, v102
	v_fma_f32 v14, v93, v167, -v14
	v_add_f32_e32 v72, v89, v72
	v_add_f32_e32 v15, v18, v15
	;; [unrolled: 1-line block ×3, first 2 shown]
	v_mul_f32_e32 v89, 0xbf0a6770, v80
	v_mul_f32_e32 v93, 0xbf68dda4, v80
	;; [unrolled: 1-line block ×5, first 2 shown]
	v_fma_f32 v90, v18, s8, -v89
	v_fmac_f32_e32 v89, 0x3f575c64, v18
	v_fma_f32 v94, v18, s6, -v93
	v_fmac_f32_e32 v93, 0x3ed4b147, v18
	;; [unrolled: 2-line block ×5, first 2 shown]
	v_add_f32_e32 v17, v16, v78
	v_add_f32_e32 v90, v16, v90
	v_add_f32_e32 v89, v16, v89
	v_add_f32_e32 v94, v16, v94
	v_add_f32_e32 v93, v16, v93
	v_add_f32_e32 v99, v16, v99
	v_add_f32_e32 v97, v16, v97
	v_add_f32_e32 v109, v16, v109
	v_add_f32_e32 v103, v16, v103
	v_add_f32_e32 v111, v16, v111
	v_add_f32_e32 v16, v16, v80
	v_sub_f32_e32 v80, v98, v79
	v_add_f32_e32 v18, v95, v92
	v_mul_f32_e32 v113, 0xbf68dda4, v80
	v_fma_f32 v115, v18, s6, -v113
	v_fmac_f32_e32 v113, 0x3ed4b147, v18
	v_add_f32_e32 v89, v113, v89
	v_mul_f32_e32 v113, 0xbf4178ce, v80
	v_add_f32_e32 v90, v115, v90
	v_fma_f32 v115, v18, s9, -v113
	v_fmac_f32_e32 v113, 0xbf27a4f4, v18
	v_add_f32_e32 v93, v113, v93
	v_mul_f32_e32 v113, 0x3e903f40, v80
	v_add_f32_e32 v94, v115, v94
	v_fma_f32 v115, v18, s14, -v113
	v_fmac_f32_e32 v113, 0xbf75a155, v18
	v_add_f32_e32 v97, v113, v97
	v_mul_f32_e32 v113, 0x3f7d64f0, v80
	v_add_f32_e32 v99, v115, v99
	v_fma_f32 v115, v18, s7, -v113
	v_fmac_f32_e32 v113, 0xbe11bafb, v18
	v_mul_f32_e32 v80, 0x3f0a6770, v80
	v_add_f32_e32 v103, v113, v103
	v_fma_f32 v113, v18, s8, -v80
	v_fmac_f32_e32 v80, 0x3f575c64, v18
	v_add_f32_e32 v16, v80, v16
	v_sub_f32_e32 v80, v83, v88
	v_add_f32_e32 v111, v113, v111
	v_add_f32_e32 v18, v81, v86
	v_mul_f32_e32 v113, 0xbf7d64f0, v80
	v_add_f32_e32 v109, v115, v109
	v_fma_f32 v115, v18, s7, -v113
	v_fmac_f32_e32 v113, 0xbe11bafb, v18
	v_add_f32_e32 v89, v113, v89
	v_mul_f32_e32 v113, 0x3e903f40, v80
	v_add_f32_e32 v90, v115, v90
	v_fma_f32 v115, v18, s14, -v113
	v_fmac_f32_e32 v113, 0xbf75a155, v18
	v_add_f32_e32 v93, v113, v93
	v_mul_f32_e32 v113, 0x3f68dda4, v80
	v_add_f32_e32 v94, v115, v94
	v_fma_f32 v115, v18, s6, -v113
	v_fmac_f32_e32 v113, 0x3ed4b147, v18
	v_add_f32_e32 v97, v113, v97
	v_mul_f32_e32 v113, 0xbf0a6770, v80
	v_add_f32_e32 v99, v115, v99
	v_fma_f32 v115, v18, s8, -v113
	v_fmac_f32_e32 v113, 0x3f575c64, v18
	v_mul_f32_e32 v80, 0xbf4178ce, v80
	v_add_f32_e32 v103, v113, v103
	v_fma_f32 v113, v18, s9, -v80
	v_fmac_f32_e32 v80, 0xbf27a4f4, v18
	v_add_f32_e32 v16, v80, v16
	v_sub_f32_e32 v80, v74, v77
	v_add_f32_e32 v111, v113, v111
	v_add_f32_e32 v18, v68, v76
	v_mul_f32_e32 v113, 0xbf4178ce, v80
	v_add_f32_e32 v109, v115, v109
	;; [unrolled: 27-line block ×3, first 2 shown]
	v_fma_f32 v115, v18, s14, -v113
	v_fmac_f32_e32 v113, 0xbf75a155, v18
	v_add_f32_e32 v89, v113, v89
	v_mul_f32_e32 v113, 0x3f0a6770, v80
	v_add_f32_e32 v90, v115, v90
	v_fma_f32 v115, v18, s8, -v113
	v_fmac_f32_e32 v113, 0x3f575c64, v18
	v_add_f32_e32 v93, v113, v93
	v_mul_f32_e32 v113, 0xbf4178ce, v80
	v_add_f32_e32 v94, v115, v94
	;; [unrolled: 5-line block ×3, first 2 shown]
	v_fma_f32 v115, v18, s6, -v113
	v_fmac_f32_e32 v113, 0x3ed4b147, v18
	v_mul_f32_e32 v80, 0xbf7d64f0, v80
	v_add_f32_e32 v103, v113, v103
	v_fma_f32 v113, v18, s7, -v80
	v_mul_f32_e32 v62, v129, v150
	v_add_f32_e32 v111, v113, v111
	v_fmac_f32_e32 v80, 0xbe11bafb, v18
	v_sub_f32_e32 v113, v48, v75
	v_fmac_f32_e32 v62, v130, v149
	v_add_f32_e32 v109, v115, v109
	v_add_f32_e32 v16, v80, v16
	;; [unrolled: 1-line block ×3, first 2 shown]
	v_mul_f32_e32 v115, 0xbf0a6770, v113
	v_mul_f32_e32 v130, 0xbf68dda4, v113
	;; [unrolled: 1-line block ×5, first 2 shown]
	v_fma_f32 v129, v80, s8, -v115
	v_fmac_f32_e32 v115, 0x3f575c64, v80
	v_fma_f32 v131, v80, s6, -v130
	v_fmac_f32_e32 v130, 0x3ed4b147, v80
	;; [unrolled: 2-line block ×5, first 2 shown]
	v_add_f32_e32 v18, v13, v44
	v_add_f32_e32 v129, v13, v129
	;; [unrolled: 1-line block ×11, first 2 shown]
	v_sub_f32_e32 v113, v42, v50
	v_add_f32_e32 v80, v41, v46
	v_mul_f32_e32 v137, 0xbf68dda4, v113
	v_fma_f32 v138, v80, s6, -v137
	v_fmac_f32_e32 v137, 0x3ed4b147, v80
	v_add_f32_e32 v115, v137, v115
	v_mul_f32_e32 v137, 0xbf4178ce, v113
	v_add_f32_e32 v129, v138, v129
	v_fma_f32 v138, v80, s9, -v137
	v_fmac_f32_e32 v137, 0xbf27a4f4, v80
	v_add_f32_e32 v130, v137, v130
	v_mul_f32_e32 v137, 0x3e903f40, v113
	v_add_f32_e32 v131, v138, v131
	v_fma_f32 v138, v80, s14, -v137
	v_fmac_f32_e32 v137, 0xbf75a155, v80
	v_add_f32_e32 v132, v137, v132
	v_mul_f32_e32 v137, 0x3f7d64f0, v113
	v_add_f32_e32 v133, v138, v133
	v_fma_f32 v138, v80, s7, -v137
	v_fmac_f32_e32 v137, 0xbe11bafb, v80
	v_mul_f32_e32 v113, 0x3f0a6770, v113
	v_add_f32_e32 v134, v137, v134
	v_fma_f32 v137, v80, s8, -v113
	v_fmac_f32_e32 v113, 0x3f575c64, v80
	v_add_f32_e32 v13, v113, v13
	v_sub_f32_e32 v113, v39, v40
	v_add_f32_e32 v136, v137, v136
	v_add_f32_e32 v80, v38, v32
	v_mul_f32_e32 v137, 0xbf7d64f0, v113
	v_add_f32_e32 v135, v138, v135
	v_fma_f32 v138, v80, s7, -v137
	v_fmac_f32_e32 v137, 0xbe11bafb, v80
	v_add_f32_e32 v115, v137, v115
	v_mul_f32_e32 v137, 0x3e903f40, v113
	v_add_f32_e32 v129, v138, v129
	v_fma_f32 v138, v80, s14, -v137
	v_fmac_f32_e32 v137, 0xbf75a155, v80
	v_add_f32_e32 v130, v137, v130
	v_mul_f32_e32 v137, 0x3f68dda4, v113
	v_add_f32_e32 v131, v138, v131
	v_fma_f32 v138, v80, s6, -v137
	v_fmac_f32_e32 v137, 0x3ed4b147, v80
	v_add_f32_e32 v132, v137, v132
	v_mul_f32_e32 v137, 0xbf0a6770, v113
	v_add_f32_e32 v133, v138, v133
	v_fma_f32 v138, v80, s8, -v137
	v_fmac_f32_e32 v137, 0x3f575c64, v80
	v_mul_f32_e32 v113, 0xbf4178ce, v113
	v_add_f32_e32 v134, v137, v134
	v_fma_f32 v137, v80, s9, -v113
	v_fmac_f32_e32 v113, 0xbf27a4f4, v80
	v_add_f32_e32 v13, v113, v13
	v_sub_f32_e32 v113, v37, v36
	v_add_f32_e32 v136, v137, v136
	v_add_f32_e32 v80, v35, v29
	v_mul_f32_e32 v137, 0xbf4178ce, v113
	v_add_f32_e32 v135, v138, v135
	;; [unrolled: 27-line block ×3, first 2 shown]
	v_fma_f32 v138, v80, s14, -v137
	v_fmac_f32_e32 v137, 0xbf75a155, v80
	v_add_f32_e32 v115, v137, v115
	v_mul_f32_e32 v137, 0x3f0a6770, v113
	v_add_f32_e32 v10, v10, v119
	v_add_f32_e32 v129, v138, v129
	v_fma_f32 v138, v80, s8, -v137
	v_fmac_f32_e32 v137, 0x3f575c64, v80
	v_add_f32_e32 v10, v10, v114
	v_add_f32_e32 v130, v137, v130
	v_mul_f32_e32 v137, 0xbf4178ce, v113
	v_add_f32_e32 v10, v10, v104
	v_add_f32_e32 v17, v17, v95
	v_add_f32_e32 v131, v138, v131
	v_fma_f32 v138, v80, s9, -v137
	v_fmac_f32_e32 v137, 0xbf27a4f4, v80
	v_add_f32_e32 v10, v10, v87
	v_add_f32_e32 v17, v17, v81
	;; [unrolled: 1-line block ×4, first 2 shown]
	v_mul_f32_e32 v137, 0x3f68dda4, v113
	v_add_f32_e32 v10, v10, v91
	v_add_f32_e32 v17, v17, v68
	;; [unrolled: 1-line block ×4, first 2 shown]
	v_fma_f32 v138, v80, s6, -v137
	v_fmac_f32_e32 v137, 0x3ed4b147, v80
	v_mul_f32_e32 v113, 0xbf7d64f0, v113
	v_add_f32_e32 v10, v10, v105
	v_add_f32_e32 v17, v17, v43
	;; [unrolled: 1-line block ×4, first 2 shown]
	v_fma_f32 v137, v80, s7, -v113
	v_fmac_f32_e32 v113, 0xbe11bafb, v80
	v_add_f32_e32 v10, v10, v108
	v_add_f32_e32 v17, v17, v47
	;; [unrolled: 1-line block ×4, first 2 shown]
	v_mov_b32_e32 v13, 2
	v_add_f32_e32 v10, v10, v110
	v_add_f32_e32 v17, v17, v76
	;; [unrolled: 1-line block ×3, first 2 shown]
	v_mul_u32_u24_e32 v80, 0x134, v123
	v_lshlrev_b32_sdwa v123, v13, v124 dst_sel:DWORD dst_unused:UNUSED_PAD src0_sel:DWORD src1_sel:BYTE_0
	v_add_f32_e32 v10, v10, v112
	v_add_f32_e32 v17, v17, v86
	;; [unrolled: 1-line block ×3, first 2 shown]
	v_add3_u32 v80, 0, v80, v123
	v_add_f32_e32 v17, v17, v92
	v_add_f32_e32 v18, v18, v32
	s_waitcnt lgkmcnt(0)
	; wave barrier
	ds_write2_b32 v80, v10, v24 offset1:7
	ds_write2_b32 v80, v64, v70 offset0:14 offset1:21
	ds_write2_b32 v80, v72, v85 offset0:28 offset1:35
	;; [unrolled: 1-line block ×4, first 2 shown]
	ds_write_b32 v80, v23 offset:280
	v_mul_u32_u24_e32 v10, 0x134, v125
	v_lshlrev_b32_sdwa v15, v13, v126 dst_sel:DWORD dst_unused:UNUSED_PAD src0_sel:DWORD src1_sel:BYTE_0
	v_add_f32_e32 v17, v17, v96
	v_add_f32_e32 v18, v18, v46
	v_add3_u32 v85, 0, v10, v15
	v_mul_u32_u24_e32 v10, 0x134, v127
	v_lshlrev_b32_sdwa v15, v13, v128 dst_sel:DWORD dst_unused:UNUSED_PAD src0_sel:DWORD src1_sel:BYTE_0
	v_add_f32_e32 v18, v18, v28
	ds_write2_b32 v85, v17, v90 offset1:7
	ds_write2_b32 v85, v94, v99 offset0:14 offset1:21
	ds_write2_b32 v85, v109, v111 offset0:28 offset1:35
	;; [unrolled: 1-line block ×4, first 2 shown]
	ds_write_b32 v85, v89 offset:280
	v_add3_u32 v89, 0, v10, v15
	v_add_f32_e32 v135, v138, v135
	v_add_f32_e32 v136, v137, v136
	ds_write2_b32 v89, v18, v129 offset1:7
	ds_write2_b32 v89, v131, v133 offset0:14 offset1:21
	ds_write2_b32 v89, v135, v136 offset0:28 offset1:35
	;; [unrolled: 1-line block ×4, first 2 shown]
	ds_write_b32 v89, v115 offset:280
	s_and_saveexec_b64 s[4:5], s[0:1]
	s_cbranch_execz .LBB0_19
; %bb.18:
	v_sub_f32_e32 v15, v65, v62
	v_mul_f32_e32 v16, 0xbe903f40, v15
	v_sub_f32_e32 v23, v57, v59
	v_add_f32_e32 v10, v60, v61
	v_mov_b32_e32 v17, v16
	v_mul_f32_e32 v24, 0x3f0a6770, v23
	v_fmac_f32_e32 v17, 0xbf75a155, v10
	v_add_f32_e32 v18, v56, v58
	v_mov_b32_e32 v63, v24
	v_sub_f32_e32 v64, v53, v55
	v_add_f32_e32 v17, v9, v17
	v_fmac_f32_e32 v63, 0x3f575c64, v18
	v_mul_f32_e32 v69, 0xbf4178ce, v64
	v_add_f32_e32 v17, v63, v17
	v_add_f32_e32 v63, v52, v22
	v_mov_b32_e32 v70, v69
	v_sub_f32_e32 v71, v34, v51
	v_fma_f32 v16, v10, s14, -v16
	v_fmac_f32_e32 v70, 0xbf27a4f4, v63
	v_mul_f32_e32 v72, 0x3f68dda4, v71
	v_add_f32_e32 v16, v9, v16
	v_fma_f32 v24, v18, s8, -v24
	v_add_f32_e32 v17, v70, v17
	v_add_f32_e32 v70, v33, v21
	v_mov_b32_e32 v90, v72
	v_add_f32_e32 v16, v24, v16
	v_fma_f32 v24, v63, s9, -v69
	v_fmac_f32_e32 v90, 0x3ed4b147, v70
	v_sub_f32_e32 v93, v19, v25
	v_add_f32_e32 v16, v24, v16
	v_fma_f32 v24, v70, s6, -v72
	v_add_f32_e32 v17, v90, v17
	v_add_f32_e32 v90, v6, v20
	v_mul_f32_e32 v94, 0xbf7d64f0, v93
	v_add_f32_e32 v16, v24, v16
	v_mul_f32_e32 v24, 0xbf4178ce, v15
	v_fma_f32 v97, v90, s7, -v94
	v_fmac_f32_e32 v94, 0xbe11bafb, v90
	v_mov_b32_e32 v69, v24
	v_mul_f32_e32 v72, 0x3f7d64f0, v23
	v_add_f32_e32 v17, v94, v17
	v_fmac_f32_e32 v69, 0xbf27a4f4, v10
	v_mov_b32_e32 v94, v72
	v_add_f32_e32 v69, v9, v69
	v_fmac_f32_e32 v94, 0xbe11bafb, v18
	v_add_f32_e32 v69, v94, v69
	v_mul_f32_e32 v94, 0xbf0a6770, v64
	v_add_f32_e32 v16, v97, v16
	v_mov_b32_e32 v97, v94
	v_fmac_f32_e32 v97, 0x3f575c64, v63
	v_add_f32_e32 v69, v97, v69
	v_mul_f32_e32 v97, 0xbe903f40, v71
	v_fma_f32 v24, v10, s9, -v24
	v_fma_f32 v99, v70, s14, -v97
	v_fmac_f32_e32 v97, 0xbf75a155, v70
	v_add_f32_e32 v24, v9, v24
	v_fma_f32 v72, v18, s7, -v72
	v_add_f32_e32 v69, v97, v69
	v_mul_f32_e32 v97, 0x3f68dda4, v93
	v_add_f32_e32 v24, v72, v24
	v_fma_f32 v72, v63, s8, -v94
	v_fma_f32 v103, v90, s6, -v97
	v_fmac_f32_e32 v97, 0x3ed4b147, v90
	v_add_f32_e32 v24, v72, v24
	v_mul_f32_e32 v72, 0xbf7d64f0, v15
	v_add_f32_e32 v69, v97, v69
	v_mov_b32_e32 v94, v72
	v_mul_f32_e32 v97, 0x3e903f40, v23
	v_add_f32_e32 v24, v99, v24
	v_fmac_f32_e32 v94, 0xbe11bafb, v10
	v_mov_b32_e32 v99, v97
	v_add_f32_e32 v94, v9, v94
	v_fmac_f32_e32 v99, 0xbf75a155, v18
	v_add_f32_e32 v94, v99, v94
	v_mul_f32_e32 v99, 0x3f68dda4, v64
	v_add_f32_e32 v24, v103, v24
	v_mov_b32_e32 v103, v99
	v_fmac_f32_e32 v103, 0x3ed4b147, v63
	v_add_f32_e32 v94, v103, v94
	v_mul_f32_e32 v103, 0xbf0a6770, v71
	v_fma_f32 v72, v10, s7, -v72
	v_fma_f32 v109, v70, s8, -v103
	v_fmac_f32_e32 v103, 0x3f575c64, v70
	v_add_f32_e32 v72, v9, v72
	v_fma_f32 v97, v18, s14, -v97
	v_add_f32_e32 v94, v103, v94
	v_mul_f32_e32 v103, 0xbf4178ce, v93
	v_add_f32_e32 v72, v97, v72
	v_fma_f32 v97, v63, s6, -v99
	v_fma_f32 v111, v90, s9, -v103
	v_fmac_f32_e32 v103, 0xbf27a4f4, v90
	v_add_f32_e32 v72, v97, v72
	v_mul_f32_e32 v97, 0xbf68dda4, v15
	v_add_f32_e32 v94, v103, v94
	v_mov_b32_e32 v99, v97
	v_mul_f32_e32 v103, 0xbf4178ce, v23
	v_add_f32_e32 v72, v109, v72
	v_fmac_f32_e32 v99, 0x3ed4b147, v10
	v_mov_b32_e32 v109, v103
	v_add_f32_e32 v99, v9, v99
	v_fmac_f32_e32 v109, 0xbf27a4f4, v18
	v_fma_f32 v97, v10, s6, -v97
	v_add_f32_e32 v99, v109, v99
	v_mul_f32_e32 v109, 0x3e903f40, v64
	v_add_f32_e32 v97, v9, v97
	v_fma_f32 v103, v18, s9, -v103
	v_add_f32_e32 v97, v103, v97
	v_fma_f32 v103, v63, s14, -v109
	v_mul_f32_e32 v15, 0xbf0a6770, v15
	v_add_f32_e32 v97, v103, v97
	v_mov_b32_e32 v103, v15
	v_fmac_f32_e32 v103, 0x3f575c64, v10
	v_fma_f32 v10, v10, s8, -v15
	v_add_f32_e32 v103, v9, v103
	v_add_f32_e32 v10, v9, v10
	;; [unrolled: 1-line block ×3, first 2 shown]
	v_mul_f32_e32 v23, 0xbf68dda4, v23
	v_add_f32_e32 v9, v9, v56
	v_add_f32_e32 v72, v111, v72
	v_mov_b32_e32 v111, v109
	v_mov_b32_e32 v109, v23
	v_add_f32_e32 v9, v9, v52
	v_fmac_f32_e32 v111, 0xbf75a155, v63
	v_fmac_f32_e32 v109, 0x3ed4b147, v18
	v_mul_f32_e32 v64, 0xbf7d64f0, v64
	v_add_f32_e32 v9, v9, v33
	v_add_f32_e32 v99, v111, v99
	v_mul_f32_e32 v111, 0x3f7d64f0, v71
	v_add_f32_e32 v103, v109, v103
	v_mov_b32_e32 v109, v64
	v_fma_f32 v15, v18, s6, -v23
	v_add_f32_e32 v9, v9, v6
	v_fma_f32 v113, v70, s7, -v111
	v_fmac_f32_e32 v111, 0xbe11bafb, v70
	v_fmac_f32_e32 v109, 0xbe11bafb, v63
	v_mul_f32_e32 v71, 0xbf4178ce, v71
	v_add_f32_e32 v10, v15, v10
	v_fma_f32 v15, v63, s7, -v64
	v_add_f32_e32 v9, v9, v20
	v_add_f32_e32 v99, v111, v99
	v_mul_f32_e32 v111, 0x3f0a6770, v93
	v_add_f32_e32 v103, v109, v103
	v_mov_b32_e32 v109, v71
	v_mul_f32_e32 v93, 0xbe903f40, v93
	v_add_f32_e32 v10, v15, v10
	v_fma_f32 v15, v70, s9, -v71
	v_add_f32_e32 v9, v9, v21
	v_fmac_f32_e32 v109, 0xbf27a4f4, v70
	v_add_f32_e32 v10, v15, v10
	v_fma_f32 v15, v90, s14, -v93
	v_add_f32_e32 v9, v9, v22
	v_add_f32_e32 v103, v109, v103
	v_mov_b32_e32 v109, v93
	v_add_f32_e32 v10, v15, v10
	v_add_f32_e32 v9, v9, v58
	v_mul_u32_u24_e32 v15, 0x134, v8
	v_lshlrev_b32_sdwa v13, v13, v26 dst_sel:DWORD dst_unused:UNUSED_PAD src0_sel:DWORD src1_sel:BYTE_0
	v_fma_f32 v115, v90, s8, -v111
	v_fmac_f32_e32 v111, 0x3f575c64, v90
	v_add_f32_e32 v97, v113, v97
	v_fmac_f32_e32 v109, 0xbf75a155, v90
	v_add_f32_e32 v9, v9, v61
	v_add3_u32 v13, 0, v15, v13
	v_add_f32_e32 v99, v111, v99
	v_add_f32_e32 v97, v115, v97
	;; [unrolled: 1-line block ×3, first 2 shown]
	ds_write2_b32 v13, v9, v10 offset1:7
	ds_write2_b32 v13, v97, v72 offset0:14 offset1:21
	ds_write2_b32 v13, v24, v16 offset0:28 offset1:35
	;; [unrolled: 1-line block ×4, first 2 shown]
	ds_write_b32 v13, v103 offset:280
.LBB0_19:
	s_or_b64 exec, exec, s[4:5]
	v_add_f32_e32 v9, v11, v120
	v_add_f32_e32 v9, v9, v117
	v_add_f32_e32 v9, v9, v106
	v_add_f32_e32 v9, v9, v100
	v_add_f32_e32 v9, v9, v82
	v_add_f32_e32 v9, v9, v84
	v_add_f32_e32 v9, v9, v101
	v_add_f32_e32 v9, v9, v107
	v_sub_f32_e32 v10, v122, v112
	v_add_f32_e32 v9, v9, v118
	v_mul_f32_e32 v13, 0xbf0a6770, v10
	v_mul_f32_e32 v16, 0xbf68dda4, v10
	;; [unrolled: 1-line block ×5, first 2 shown]
	v_add_f32_e32 v90, v9, v121
	v_add_f32_e32 v9, v120, v121
	v_mov_b32_e32 v15, v13
	v_mov_b32_e32 v17, v16
	;; [unrolled: 1-line block ×5, first 2 shown]
	v_fmac_f32_e32 v15, 0x3f575c64, v9
	v_fma_f32 v13, v9, s8, -v13
	v_fmac_f32_e32 v17, 0x3ed4b147, v9
	v_fma_f32 v16, v9, s6, -v16
	;; [unrolled: 2-line block ×5, first 2 shown]
	v_add_f32_e32 v15, v11, v15
	v_add_f32_e32 v13, v11, v13
	;; [unrolled: 1-line block ×10, first 2 shown]
	v_sub_f32_e32 v11, v119, v110
	v_add_f32_e32 v10, v117, v118
	v_mul_f32_e32 v69, 0xbf68dda4, v11
	v_mov_b32_e32 v70, v69
	v_fma_f32 v69, v10, s6, -v69
	v_fmac_f32_e32 v70, 0x3ed4b147, v10
	v_add_f32_e32 v13, v69, v13
	v_mul_f32_e32 v69, 0xbf4178ce, v11
	v_add_f32_e32 v15, v70, v15
	v_mov_b32_e32 v70, v69
	v_fma_f32 v69, v10, s9, -v69
	v_fmac_f32_e32 v70, 0xbf27a4f4, v10
	v_add_f32_e32 v16, v69, v16
	v_mul_f32_e32 v69, 0x3e903f40, v11
	v_add_f32_e32 v17, v70, v17
	;; [unrolled: 6-line block ×3, first 2 shown]
	v_mov_b32_e32 v70, v69
	v_fma_f32 v69, v10, s7, -v69
	v_mul_f32_e32 v11, 0x3f0a6770, v11
	v_add_f32_e32 v24, v69, v24
	v_mov_b32_e32 v69, v11
	v_fmac_f32_e32 v70, 0xbe11bafb, v10
	v_fmac_f32_e32 v69, 0x3f575c64, v10
	v_fma_f32 v10, v10, s8, -v11
	v_sub_f32_e32 v11, v114, v108
	v_add_f32_e32 v64, v69, v64
	v_add_f32_e32 v9, v10, v9
	v_add_f32_e32 v10, v106, v107
	v_mul_f32_e32 v69, 0xbf7d64f0, v11
	v_add_f32_e32 v63, v70, v63
	v_mov_b32_e32 v70, v69
	v_fma_f32 v69, v10, s7, -v69
	v_fmac_f32_e32 v70, 0xbe11bafb, v10
	v_add_f32_e32 v13, v69, v13
	v_mul_f32_e32 v69, 0x3e903f40, v11
	v_add_f32_e32 v15, v70, v15
	v_mov_b32_e32 v70, v69
	v_fma_f32 v69, v10, s14, -v69
	v_fmac_f32_e32 v70, 0xbf75a155, v10
	v_add_f32_e32 v16, v69, v16
	;; [unrolled: 6-line block ×3, first 2 shown]
	v_mul_f32_e32 v69, 0xbf0a6770, v11
	v_add_f32_e32 v23, v70, v23
	v_mov_b32_e32 v70, v69
	v_fma_f32 v69, v10, s8, -v69
	v_mul_f32_e32 v11, 0xbf4178ce, v11
	v_add_f32_e32 v24, v69, v24
	v_mov_b32_e32 v69, v11
	v_fmac_f32_e32 v70, 0x3f575c64, v10
	v_fmac_f32_e32 v69, 0xbf27a4f4, v10
	v_fma_f32 v10, v10, s9, -v11
	v_sub_f32_e32 v11, v104, v105
	v_add_f32_e32 v64, v69, v64
	v_add_f32_e32 v9, v10, v9
	v_add_f32_e32 v10, v100, v101
	v_mul_f32_e32 v69, 0xbf4178ce, v11
	v_add_f32_e32 v63, v70, v63
	v_mov_b32_e32 v70, v69
	v_fma_f32 v69, v10, s9, -v69
	v_fmac_f32_e32 v70, 0xbf27a4f4, v10
	v_add_f32_e32 v13, v69, v13
	v_mul_f32_e32 v69, 0x3f7d64f0, v11
	v_add_f32_e32 v15, v70, v15
	v_mov_b32_e32 v70, v69
	v_fma_f32 v69, v10, s7, -v69
	v_fmac_f32_e32 v70, 0xbe11bafb, v10
	v_add_f32_e32 v16, v69, v16
	;; [unrolled: 6-line block ×3, first 2 shown]
	v_mul_f32_e32 v69, 0xbe903f40, v11
	v_add_f32_e32 v23, v70, v23
	v_mov_b32_e32 v70, v69
	v_fma_f32 v69, v10, s14, -v69
	v_mul_f32_e32 v11, 0x3f68dda4, v11
	v_add_f32_e32 v24, v69, v24
	v_mov_b32_e32 v69, v11
	v_fmac_f32_e32 v70, 0xbf75a155, v10
	v_fmac_f32_e32 v69, 0x3ed4b147, v10
	v_fma_f32 v10, v10, s6, -v11
	v_sub_f32_e32 v11, v87, v91
	v_add_f32_e32 v64, v69, v64
	v_mul_f32_e32 v69, 0xbe903f40, v11
	v_add_f32_e32 v63, v70, v63
	v_add_f32_e32 v9, v10, v9
	;; [unrolled: 1-line block ×3, first 2 shown]
	v_mov_b32_e32 v70, v69
	v_fmac_f32_e32 v70, 0xbf75a155, v10
	v_add_f32_e32 v82, v70, v15
	v_fma_f32 v15, v10, s14, -v69
	v_add_f32_e32 v84, v15, v13
	v_mul_f32_e32 v13, 0x3f0a6770, v11
	v_mov_b32_e32 v15, v13
	v_fma_f32 v13, v10, s8, -v13
	v_fmac_f32_e32 v15, 0x3f575c64, v10
	v_add_f32_e32 v91, v13, v16
	v_mul_f32_e32 v13, 0xbf4178ce, v11
	v_add_f32_e32 v87, v15, v17
	v_mov_b32_e32 v15, v13
	v_fma_f32 v13, v10, s9, -v13
	v_fmac_f32_e32 v15, 0xbf27a4f4, v10
	v_add_f32_e32 v94, v13, v18
	v_mul_f32_e32 v13, 0x3f68dda4, v11
	v_add_f32_e32 v93, v15, v23
	v_mov_b32_e32 v15, v13
	v_fma_f32 v13, v10, s6, -v13
	v_mul_f32_e32 v11, 0xbf7d64f0, v11
	v_add_f32_e32 v99, v13, v24
	v_mov_b32_e32 v13, v11
	v_fmac_f32_e32 v15, 0x3ed4b147, v10
	v_fmac_f32_e32 v13, 0xbe11bafb, v10
	v_fma_f32 v10, v10, s7, -v11
	v_add_f32_e32 v101, v10, v9
	v_add_f32_e32 v9, v12, v67
	;; [unrolled: 1-line block ×9, first 2 shown]
	v_sub_f32_e32 v10, v78, v96
	v_add_f32_e32 v97, v15, v63
	v_add_f32_e32 v9, v9, v79
	v_mul_f32_e32 v11, 0xbf0a6770, v10
	v_mul_f32_e32 v15, 0xbf68dda4, v10
	;; [unrolled: 1-line block ×5, first 2 shown]
	v_add_f32_e32 v100, v13, v64
	v_add_f32_e32 v103, v9, v102
	v_add_f32_e32 v9, v67, v102
	v_mov_b32_e32 v13, v11
	v_mov_b32_e32 v16, v15
	;; [unrolled: 1-line block ×5, first 2 shown]
	v_fmac_f32_e32 v13, 0x3f575c64, v9
	v_fma_f32 v11, v9, s8, -v11
	v_fmac_f32_e32 v16, 0x3ed4b147, v9
	v_fma_f32 v15, v9, s6, -v15
	v_fmac_f32_e32 v18, 0xbe11bafb, v9
	v_fma_f32 v17, v9, s7, -v17
	v_fmac_f32_e32 v24, 0xbf27a4f4, v9
	v_fma_f32 v23, v9, s9, -v23
	v_fmac_f32_e32 v63, 0xbf75a155, v9
	v_fma_f32 v9, v9, s14, -v10
	v_add_f32_e32 v13, v12, v13
	v_add_f32_e32 v11, v12, v11
	;; [unrolled: 1-line block ×10, first 2 shown]
	v_sub_f32_e32 v12, v95, v92
	v_add_f32_e32 v10, v98, v79
	v_mul_f32_e32 v64, 0xbf68dda4, v12
	v_mov_b32_e32 v67, v64
	v_fma_f32 v64, v10, s6, -v64
	v_fmac_f32_e32 v67, 0x3ed4b147, v10
	v_add_f32_e32 v11, v64, v11
	v_mul_f32_e32 v64, 0xbf4178ce, v12
	v_add_f32_e32 v13, v67, v13
	v_mov_b32_e32 v67, v64
	v_fma_f32 v64, v10, s9, -v64
	v_fmac_f32_e32 v67, 0xbf27a4f4, v10
	v_add_f32_e32 v15, v64, v15
	v_mul_f32_e32 v64, 0x3e903f40, v12
	v_add_f32_e32 v16, v67, v16
	;; [unrolled: 6-line block ×3, first 2 shown]
	v_mov_b32_e32 v67, v64
	v_fma_f32 v64, v10, s7, -v64
	v_mul_f32_e32 v12, 0x3f0a6770, v12
	v_add_f32_e32 v23, v64, v23
	v_mov_b32_e32 v64, v12
	v_fmac_f32_e32 v67, 0xbe11bafb, v10
	v_fmac_f32_e32 v64, 0x3f575c64, v10
	v_fma_f32 v10, v10, s8, -v12
	v_sub_f32_e32 v12, v81, v86
	v_add_f32_e32 v63, v64, v63
	v_add_f32_e32 v9, v10, v9
	;; [unrolled: 1-line block ×3, first 2 shown]
	v_mul_f32_e32 v64, 0xbf7d64f0, v12
	v_add_f32_e32 v24, v67, v24
	v_mov_b32_e32 v67, v64
	v_fma_f32 v64, v10, s7, -v64
	v_fmac_f32_e32 v67, 0xbe11bafb, v10
	v_add_f32_e32 v11, v64, v11
	v_mul_f32_e32 v64, 0x3e903f40, v12
	v_add_f32_e32 v13, v67, v13
	v_mov_b32_e32 v67, v64
	v_fma_f32 v64, v10, s14, -v64
	v_fmac_f32_e32 v67, 0xbf75a155, v10
	v_add_f32_e32 v15, v64, v15
	;; [unrolled: 6-line block ×3, first 2 shown]
	v_mul_f32_e32 v64, 0xbf0a6770, v12
	v_add_f32_e32 v18, v67, v18
	v_mov_b32_e32 v67, v64
	v_fma_f32 v64, v10, s8, -v64
	v_mul_f32_e32 v12, 0xbf4178ce, v12
	v_add_f32_e32 v23, v64, v23
	v_mov_b32_e32 v64, v12
	v_fmac_f32_e32 v67, 0x3f575c64, v10
	v_fmac_f32_e32 v64, 0xbf27a4f4, v10
	v_fma_f32 v10, v10, s9, -v12
	v_sub_f32_e32 v12, v68, v76
	v_add_f32_e32 v63, v64, v63
	v_add_f32_e32 v9, v10, v9
	;; [unrolled: 1-line block ×3, first 2 shown]
	v_mul_f32_e32 v64, 0xbf4178ce, v12
	v_add_f32_e32 v24, v67, v24
	v_mov_b32_e32 v67, v64
	v_fma_f32 v64, v10, s9, -v64
	v_fmac_f32_e32 v67, 0xbf27a4f4, v10
	v_add_f32_e32 v11, v64, v11
	v_mul_f32_e32 v64, 0x3f7d64f0, v12
	v_add_f32_e32 v13, v67, v13
	v_mov_b32_e32 v67, v64
	v_fma_f32 v64, v10, s7, -v64
	v_fmac_f32_e32 v67, 0xbe11bafb, v10
	v_add_f32_e32 v15, v64, v15
	;; [unrolled: 6-line block ×3, first 2 shown]
	v_mul_f32_e32 v64, 0xbe903f40, v12
	v_add_f32_e32 v18, v67, v18
	v_mov_b32_e32 v67, v64
	v_fma_f32 v64, v10, s14, -v64
	v_mul_f32_e32 v12, 0x3f68dda4, v12
	v_add_f32_e32 v23, v64, v23
	v_mov_b32_e32 v64, v12
	v_fmac_f32_e32 v67, 0xbf75a155, v10
	v_fmac_f32_e32 v64, 0x3ed4b147, v10
	v_fma_f32 v10, v10, s6, -v12
	v_sub_f32_e32 v12, v43, v47
	v_mul_f32_e32 v43, 0xbe903f40, v12
	v_add_f32_e32 v9, v10, v9
	v_add_f32_e32 v10, v45, v49
	v_mov_b32_e32 v45, v43
	v_fmac_f32_e32 v45, 0xbf75a155, v10
	v_add_f32_e32 v76, v45, v13
	v_fma_f32 v13, v10, s14, -v43
	v_add_f32_e32 v78, v13, v11
	v_mul_f32_e32 v11, 0x3f0a6770, v12
	v_mov_b32_e32 v13, v11
	v_fma_f32 v11, v10, s8, -v11
	v_fmac_f32_e32 v13, 0x3f575c64, v10
	v_add_f32_e32 v81, v11, v15
	v_mul_f32_e32 v11, 0xbf4178ce, v12
	v_add_f32_e32 v79, v13, v16
	v_mov_b32_e32 v13, v11
	v_fma_f32 v11, v10, s9, -v11
	v_fmac_f32_e32 v13, 0xbf27a4f4, v10
	v_add_f32_e32 v86, v11, v17
	v_mul_f32_e32 v11, 0x3f68dda4, v12
	v_add_f32_e32 v83, v13, v18
	v_mov_b32_e32 v13, v11
	v_fma_f32 v11, v10, s6, -v11
	v_add_f32_e32 v92, v11, v23
	v_mul_f32_e32 v11, 0xbf7d64f0, v12
	v_mov_b32_e32 v12, v11
	v_fmac_f32_e32 v13, 0x3ed4b147, v10
	v_fmac_f32_e32 v12, 0xbe11bafb, v10
	v_fma_f32 v10, v10, s7, -v11
	v_add_f32_e32 v96, v10, v9
	v_add_f32_e32 v9, v7, v48
	;; [unrolled: 1-line block ×10, first 2 shown]
	v_sub_f32_e32 v10, v44, v28
	v_add_f32_e32 v63, v64, v63
	v_add_f32_e32 v88, v13, v24
	;; [unrolled: 1-line block ×3, first 2 shown]
	v_mul_f32_e32 v11, 0xbf0a6770, v10
	v_mul_f32_e32 v13, 0xbf68dda4, v10
	;; [unrolled: 1-line block ×5, first 2 shown]
	v_add_f32_e32 v95, v12, v63
	v_add_f32_e32 v98, v9, v75
	;; [unrolled: 1-line block ×3, first 2 shown]
	v_mov_b32_e32 v12, v11
	v_mov_b32_e32 v15, v13
	;; [unrolled: 1-line block ×5, first 2 shown]
	v_fmac_f32_e32 v12, 0x3f575c64, v9
	v_fma_f32 v11, v9, s8, -v11
	v_fmac_f32_e32 v15, 0x3ed4b147, v9
	v_fma_f32 v13, v9, s6, -v13
	;; [unrolled: 2-line block ×5, first 2 shown]
	v_sub_f32_e32 v10, v41, v46
	v_add_f32_e32 v12, v7, v12
	v_add_f32_e32 v11, v7, v11
	;; [unrolled: 1-line block ×11, first 2 shown]
	v_mul_f32_e32 v28, 0xbf68dda4, v10
	v_mov_b32_e32 v41, v28
	v_fma_f32 v28, v9, s6, -v28
	v_fmac_f32_e32 v41, 0x3ed4b147, v9
	v_add_f32_e32 v11, v28, v11
	v_mul_f32_e32 v28, 0xbf4178ce, v10
	v_add_f32_e32 v12, v41, v12
	v_mov_b32_e32 v41, v28
	v_fma_f32 v28, v9, s9, -v28
	v_fmac_f32_e32 v41, 0xbf27a4f4, v9
	v_add_f32_e32 v13, v28, v13
	v_mul_f32_e32 v28, 0x3e903f40, v10
	v_add_f32_e32 v15, v41, v15
	;; [unrolled: 6-line block ×3, first 2 shown]
	v_mov_b32_e32 v41, v28
	v_fma_f32 v28, v9, s7, -v28
	v_mul_f32_e32 v10, 0x3f0a6770, v10
	v_add_f32_e32 v18, v28, v18
	v_mov_b32_e32 v28, v10
	v_fmac_f32_e32 v41, 0xbe11bafb, v9
	v_fmac_f32_e32 v28, 0x3f575c64, v9
	v_fma_f32 v9, v9, s8, -v10
	v_sub_f32_e32 v10, v38, v32
	v_add_f32_e32 v24, v28, v24
	v_add_f32_e32 v7, v9, v7
	;; [unrolled: 1-line block ×3, first 2 shown]
	v_mul_f32_e32 v28, 0xbf7d64f0, v10
	v_mov_b32_e32 v32, v28
	v_fma_f32 v28, v9, s7, -v28
	v_fmac_f32_e32 v32, 0xbe11bafb, v9
	v_add_f32_e32 v11, v28, v11
	v_mul_f32_e32 v28, 0x3e903f40, v10
	v_add_f32_e32 v12, v32, v12
	v_mov_b32_e32 v32, v28
	v_fma_f32 v28, v9, s14, -v28
	v_fmac_f32_e32 v32, 0xbf75a155, v9
	v_add_f32_e32 v13, v28, v13
	v_mul_f32_e32 v28, 0x3f68dda4, v10
	v_add_f32_e32 v15, v32, v15
	;; [unrolled: 6-line block ×3, first 2 shown]
	v_mov_b32_e32 v32, v28
	v_fma_f32 v28, v9, s8, -v28
	v_mul_f32_e32 v10, 0xbf4178ce, v10
	v_add_f32_e32 v18, v28, v18
	v_mov_b32_e32 v28, v10
	v_fmac_f32_e32 v32, 0x3f575c64, v9
	v_fmac_f32_e32 v28, 0xbf27a4f4, v9
	v_fma_f32 v9, v9, s9, -v10
	v_sub_f32_e32 v10, v35, v29
	v_add_f32_e32 v24, v28, v24
	v_add_f32_e32 v7, v9, v7
	;; [unrolled: 1-line block ×3, first 2 shown]
	v_mul_f32_e32 v28, 0xbf4178ce, v10
	v_mov_b32_e32 v29, v28
	v_fma_f32 v28, v9, s9, -v28
	v_fmac_f32_e32 v29, 0xbf27a4f4, v9
	v_add_f32_e32 v11, v28, v11
	v_mul_f32_e32 v28, 0x3f7d64f0, v10
	v_add_f32_e32 v12, v29, v12
	v_mov_b32_e32 v29, v28
	v_fma_f32 v28, v9, s7, -v28
	v_fmac_f32_e32 v29, 0xbe11bafb, v9
	v_add_f32_e32 v13, v28, v13
	v_mul_f32_e32 v28, 0xbf0a6770, v10
	v_add_f32_e32 v15, v29, v15
	;; [unrolled: 6-line block ×3, first 2 shown]
	v_mov_b32_e32 v29, v28
	v_fma_f32 v28, v9, s14, -v28
	v_mul_f32_e32 v10, 0x3f68dda4, v10
	v_add_f32_e32 v18, v28, v18
	v_mov_b32_e32 v28, v10
	v_fmac_f32_e32 v29, 0xbf75a155, v9
	v_fmac_f32_e32 v28, 0x3ed4b147, v9
	v_fma_f32 v9, v9, s6, -v10
	v_sub_f32_e32 v10, v14, v30
	v_mul_f32_e32 v14, 0xbe903f40, v10
	v_add_f32_e32 v7, v9, v7
	v_add_f32_e32 v9, v27, v31
	v_mov_b32_e32 v27, v14
	v_fmac_f32_e32 v27, 0xbf75a155, v9
	v_add_f32_e32 v75, v27, v12
	v_fma_f32 v12, v9, s14, -v14
	v_add_f32_e32 v102, v12, v11
	v_mul_f32_e32 v11, 0x3f0a6770, v10
	v_mov_b32_e32 v12, v11
	v_fma_f32 v11, v9, s8, -v11
	v_fmac_f32_e32 v12, 0x3f575c64, v9
	v_add_f32_e32 v105, v11, v13
	v_mul_f32_e32 v11, 0xbf4178ce, v10
	v_add_f32_e32 v104, v12, v15
	v_mov_b32_e32 v12, v11
	v_fma_f32 v11, v9, s9, -v11
	v_fmac_f32_e32 v12, 0xbf27a4f4, v9
	v_add_f32_e32 v107, v11, v16
	v_mul_f32_e32 v11, 0x3f68dda4, v10
	v_add_f32_e32 v106, v12, v17
	v_mov_b32_e32 v12, v11
	v_fma_f32 v11, v9, s6, -v11
	v_mul_f32_e32 v10, 0xbf7d64f0, v10
	v_add_f32_e32 v109, v11, v18
	v_mov_b32_e32 v11, v10
	v_add_f32_e32 v23, v41, v23
	v_fmac_f32_e32 v12, 0x3ed4b147, v9
	v_fmac_f32_e32 v11, 0xbe11bafb, v9
	v_fma_f32 v9, v9, s7, -v10
	v_add_u32_e32 v64, 0x400, v0
	v_add_u32_e32 v63, 0xc00, v0
	;; [unrolled: 1-line block ×4, first 2 shown]
	v_add_f32_e32 v23, v32, v23
	v_add_f32_e32 v7, v9, v7
	s_waitcnt lgkmcnt(0)
	; wave barrier
	s_waitcnt lgkmcnt(0)
	ds_read2_b32 v[13:14], v0 offset1:55
	ds_read2_b32 v[9:10], v64 offset0:74 offset1:129
	ds_read2_b32 v[49:50], v63 offset0:2 offset1:57
	;; [unrolled: 1-line block ×9, first 2 shown]
	v_add_f32_e32 v23, v29, v23
	v_add_f32_e32 v24, v28, v24
	v_add_u32_e32 v68, 0x800, v0
	v_add_u32_e32 v70, 0x1400, v0
	;; [unrolled: 1-line block ×5, first 2 shown]
	v_add_f32_e32 v108, v12, v23
	v_add_f32_e32 v110, v11, v24
	ds_read2_b32 v[37:38], v68 offset0:38 offset1:93
	ds_read2_b32 v[35:36], v70 offset0:40 offset1:95
	;; [unrolled: 1-line block ×7, first 2 shown]
	ds_read_b32 v77, v0 offset:7480
	s_waitcnt lgkmcnt(0)
	; wave barrier
	s_waitcnt lgkmcnt(0)
	ds_write2_b32 v80, v90, v82 offset1:7
	ds_write2_b32 v80, v87, v93 offset0:14 offset1:21
	ds_write2_b32 v80, v97, v100 offset0:28 offset1:35
	ds_write2_b32 v80, v101, v99 offset0:42 offset1:49
	ds_write2_b32 v80, v94, v91 offset0:56 offset1:63
	ds_write_b32 v80, v84 offset:280
	ds_write2_b32 v85, v103, v76 offset1:7
	ds_write2_b32 v85, v79, v83 offset0:14 offset1:21
	ds_write2_b32 v85, v88, v95 offset0:28 offset1:35
	ds_write2_b32 v85, v96, v92 offset0:42 offset1:49
	ds_write2_b32 v85, v86, v81 offset0:56 offset1:63
	ds_write_b32 v85, v78 offset:280
	;; [unrolled: 6-line block ×3, first 2 shown]
	s_and_saveexec_b64 s[4:5], s[0:1]
	s_cbranch_execz .LBB0_21
; %bb.20:
	v_add_f32_e32 v7, v5, v65
	v_add_f32_e32 v7, v7, v57
	;; [unrolled: 1-line block ×8, first 2 shown]
	v_sub_f32_e32 v60, v60, v61
	v_add_f32_e32 v7, v7, v59
	v_mul_f32_e32 v61, 0xbf0a6770, v60
	v_mul_f32_e32 v75, 0xbf68dda4, v60
	;; [unrolled: 1-line block ×5, first 2 shown]
	v_add_f32_e32 v7, v7, v62
	v_add_f32_e32 v62, v65, v62
	s_mov_b32 s0, 0x3f575c64
	s_mov_b32 s1, 0x3ed4b147
	s_mov_b32 s6, 0xbe11bafb
	s_mov_b32 s7, 0xbf27a4f4
	s_mov_b32 s8, 0xbf75a155
	v_mov_b32_e32 v82, v60
	v_sub_f32_e32 v56, v56, v58
	v_fma_f32 v65, v62, s0, -v61
	v_fmac_f32_e32 v61, 0x3f575c64, v62
	v_fma_f32 v76, v62, s1, -v75
	v_fmac_f32_e32 v75, 0x3ed4b147, v62
	v_fma_f32 v79, v62, s6, -v78
	v_fmac_f32_e32 v78, 0xbe11bafb, v62
	v_fma_f32 v81, v62, s7, -v80
	v_fmac_f32_e32 v80, 0xbf27a4f4, v62
	v_fmac_f32_e32 v82, 0xbf75a155, v62
	v_fma_f32 v60, v62, s8, -v60
	v_add_f32_e32 v57, v57, v59
	v_mul_f32_e32 v58, 0xbf68dda4, v56
	v_add_f32_e32 v61, v5, v61
	v_add_f32_e32 v65, v5, v65
	;; [unrolled: 1-line block ×10, first 2 shown]
	v_fma_f32 v59, v57, s1, -v58
	v_fmac_f32_e32 v58, 0x3ed4b147, v57
	v_mul_f32_e32 v60, 0xbf4178ce, v56
	v_add_f32_e32 v58, v58, v61
	v_fma_f32 v61, v57, s7, -v60
	v_fmac_f32_e32 v60, 0xbf27a4f4, v57
	v_mul_f32_e32 v62, 0x3e903f40, v56
	v_add_f32_e32 v59, v59, v65
	v_add_f32_e32 v60, v60, v75
	v_fma_f32 v65, v57, s8, -v62
	v_fmac_f32_e32 v62, 0xbf75a155, v57
	v_mul_f32_e32 v75, 0x3f7d64f0, v56
	v_mul_f32_e32 v56, 0x3f0a6770, v56
	v_sub_f32_e32 v22, v52, v22
	v_add_f32_e32 v62, v62, v78
	v_mov_b32_e32 v78, v56
	v_fma_f32 v56, v57, s0, -v56
	v_add_f32_e32 v53, v53, v55
	v_mul_f32_e32 v52, 0xbf7d64f0, v22
	v_add_f32_e32 v5, v56, v5
	v_fma_f32 v55, v53, s6, -v52
	v_fmac_f32_e32 v52, 0xbe11bafb, v53
	v_mul_f32_e32 v56, 0x3e903f40, v22
	v_add_f32_e32 v61, v61, v76
	v_fma_f32 v76, v57, s6, -v75
	v_fmac_f32_e32 v75, 0xbe11bafb, v57
	v_fmac_f32_e32 v78, 0x3f575c64, v57
	v_add_f32_e32 v52, v52, v58
	v_fma_f32 v57, v53, s8, -v56
	v_fmac_f32_e32 v56, 0xbf75a155, v53
	v_mul_f32_e32 v58, 0x3f68dda4, v22
	v_add_f32_e32 v55, v55, v59
	v_add_f32_e32 v56, v56, v60
	v_fma_f32 v59, v53, s1, -v58
	v_fmac_f32_e32 v58, 0x3ed4b147, v53
	v_mul_f32_e32 v60, 0xbf0a6770, v22
	v_mul_f32_e32 v22, 0xbf4178ce, v22
	v_add_f32_e32 v58, v58, v62
	v_mov_b32_e32 v62, v22
	v_fma_f32 v22, v53, s7, -v22
	v_sub_f32_e32 v21, v33, v21
	v_add_f32_e32 v5, v22, v5
	v_add_f32_e32 v22, v34, v51
	v_mul_f32_e32 v33, 0xbf4178ce, v21
	v_fma_f32 v34, v22, s7, -v33
	v_fmac_f32_e32 v33, 0xbf27a4f4, v22
	v_mul_f32_e32 v51, 0x3f7d64f0, v21
	v_add_f32_e32 v57, v57, v61
	v_fma_f32 v61, v53, s0, -v60
	v_fmac_f32_e32 v60, 0x3f575c64, v53
	v_fmac_f32_e32 v62, 0xbf27a4f4, v53
	v_add_f32_e32 v33, v33, v52
	v_fma_f32 v52, v22, s6, -v51
	v_fmac_f32_e32 v51, 0xbe11bafb, v22
	v_mul_f32_e32 v53, 0xbf0a6770, v21
	v_add_f32_e32 v34, v34, v55
	v_add_f32_e32 v51, v51, v56
	v_fma_f32 v55, v22, s0, -v53
	v_fmac_f32_e32 v53, 0x3f575c64, v22
	v_mul_f32_e32 v56, 0xbe903f40, v21
	v_mul_f32_e32 v21, 0x3f68dda4, v21
	v_sub_f32_e32 v6, v6, v20
	v_add_f32_e32 v53, v53, v58
	v_mov_b32_e32 v58, v21
	v_fma_f32 v21, v22, s1, -v21
	v_add_f32_e32 v19, v19, v25
	v_mul_f32_e32 v20, 0xbe903f40, v6
	v_add_f32_e32 v52, v52, v57
	v_fma_f32 v57, v22, s8, -v56
	v_fmac_f32_e32 v56, 0xbf75a155, v22
	v_fmac_f32_e32 v58, 0x3ed4b147, v22
	v_add_f32_e32 v5, v21, v5
	v_fma_f32 v21, v19, s8, -v20
	v_fmac_f32_e32 v20, 0xbf75a155, v19
	v_mul_f32_e32 v22, 0x3f0a6770, v6
	v_add_f32_e32 v20, v20, v33
	v_fma_f32 v25, v19, s0, -v22
	v_fmac_f32_e32 v22, 0x3f575c64, v19
	v_mul_f32_e32 v33, 0xbf4178ce, v6
	v_add_f32_e32 v21, v21, v34
	v_add_f32_e32 v22, v22, v51
	v_fma_f32 v34, v19, s7, -v33
	v_fmac_f32_e32 v33, 0xbf27a4f4, v19
	v_mul_f32_e32 v51, 0x3f68dda4, v6
	v_mul_f32_e32 v6, 0xbf7d64f0, v6
	v_add_f32_e32 v33, v33, v53
	v_mov_b32_e32 v53, v6
	v_fma_f32 v6, v19, s6, -v6
	v_add_f32_e32 v65, v65, v79
	v_add_f32_e32 v75, v75, v80
	;; [unrolled: 1-line block ×5, first 2 shown]
	v_mul_u32_u24_e32 v6, 0x134, v8
	v_mov_b32_e32 v8, 2
	v_add_f32_e32 v59, v59, v65
	v_add_f32_e32 v60, v60, v75
	;; [unrolled: 1-line block ×4, first 2 shown]
	v_lshlrev_b32_sdwa v8, v8, v26 dst_sel:DWORD dst_unused:UNUSED_PAD src0_sel:DWORD src1_sel:BYTE_0
	v_add_f32_e32 v55, v55, v59
	v_add_f32_e32 v56, v56, v60
	;; [unrolled: 1-line block ×5, first 2 shown]
	v_fma_f32 v52, v19, s1, -v51
	v_fmac_f32_e32 v51, 0x3ed4b147, v19
	v_fmac_f32_e32 v53, 0xbe11bafb, v19
	v_add3_u32 v6, 0, v6, v8
	v_add_f32_e32 v34, v34, v55
	v_add_f32_e32 v51, v51, v56
	;; [unrolled: 1-line block ×4, first 2 shown]
	ds_write2_b32 v6, v7, v20 offset1:7
	ds_write2_b32 v6, v22, v33 offset0:14 offset1:21
	ds_write2_b32 v6, v51, v53 offset0:28 offset1:35
	;; [unrolled: 1-line block ×4, first 2 shown]
	ds_write_b32 v6, v21 offset:280
.LBB0_21:
	s_or_b64 exec, exec, s[4:5]
	v_lshlrev_b32_e32 v5, 2, v116
	v_mov_b32_e32 v6, 0
	v_lshlrev_b64 v[7:8], 3, v[5:6]
	v_mov_b32_e32 v21, s13
	v_add_co_u32_e64 v7, s[0:1], s12, v7
	v_addc_co_u32_e64 v8, s[0:1], v21, v8, s[0:1]
	v_subrev_u32_e32 v5, 22, v116
	v_cmp_gt_u32_e64 s[0:1], 22, v116
	v_cndmask_b32_e64 v5, v5, v73, s[0:1]
	v_lshlrev_b32_e32 v5, 2, v5
	v_lshlrev_b64 v[19:20], 3, v[5:6]
	s_waitcnt lgkmcnt(0)
	; wave barrier
	s_waitcnt lgkmcnt(0)
	global_load_dwordx4 v[57:60], v[7:8], off offset:560
	global_load_dwordx4 v[78:81], v[7:8], off offset:576
	v_add_co_u32_e64 v19, s[0:1], s12, v19
	v_addc_co_u32_e64 v20, s[0:1], v21, v20, s[0:1]
	global_load_dwordx4 v[82:85], v[19:20], off offset:560
	global_load_dwordx4 v[86:89], v[19:20], off offset:576
	s_movk_i32 s0, 0xd5
	v_mul_lo_u16_sdwa v26, v66, s0 dst_sel:DWORD dst_unused:UNUSED_PAD src0_sel:BYTE_0 src1_sel:DWORD
	v_lshrrev_b16_e32 v51, 14, v26
	v_mul_lo_u16_e32 v26, 0x4d, v51
	v_mov_b32_e32 v25, 5
	v_sub_u16_e32 v65, v66, v26
	v_mul_lo_u16_sdwa v33, v54, s0 dst_sel:DWORD dst_unused:UNUSED_PAD src0_sel:BYTE_0 src1_sel:DWORD
	v_lshlrev_b32_sdwa v25, v25, v65 dst_sel:DWORD dst_unused:UNUSED_PAD src0_sel:DWORD src1_sel:BYTE_0
	v_lshrrev_b16_e32 v33, 14, v33
	ds_read2_b32 v[21:22], v0 offset1:55
	ds_read2_b32 v[19:20], v64 offset0:74 offset1:129
	ds_read2_b32 v[61:62], v63 offset0:2 offset1:57
	global_load_dwordx4 v[90:93], v25, s[12:13] offset:576
	global_load_dwordx4 v[94:97], v25, s[12:13] offset:560
	v_mul_lo_u16_e32 v33, 0x4d, v33
	v_add_u32_e32 v55, 0xdc, v116
	v_sub_u16_e32 v33, v54, v33
	s_movk_i32 s0, 0x1a99
	v_add_u32_e32 v75, 0x113, v116
	v_and_b32_e32 v52, 0xff, v33
	v_mul_u32_u24_sdwa v53, v55, s0 dst_sel:DWORD dst_unused:UNUSED_PAD src0_sel:WORD_0 src1_sel:DWORD
	v_lshlrev_b32_e32 v33, 5, v52
	v_mul_u32_u24_sdwa v106, v75, s0 dst_sel:DWORD dst_unused:UNUSED_PAD src0_sel:WORD_0 src1_sel:DWORD
	v_lshrrev_b32_e32 v56, 19, v53
	ds_read2_b32 v[114:115], v69 offset0:76 offset1:131
	ds_read2_b32 v[124:125], v67 offset0:4 offset1:59
	;; [unrolled: 1-line block ×8, first 2 shown]
	global_load_dwordx4 v[98:101], v33, s[12:13] offset:576
	global_load_dwordx4 v[102:105], v33, s[12:13] offset:560
	v_lshrrev_b32_e32 v53, 19, v106
	v_mul_lo_u16_e32 v106, 0x4d, v56
	v_sub_u16_e32 v147, v55, v106
	v_lshlrev_b32_e32 v110, 5, v147
	ds_read2_b32 v[136:137], v70 offset0:40 offset1:95
	ds_read2_b32 v[33:34], v71 offset0:92 offset1:147
	;; [unrolled: 1-line block ×6, first 2 shown]
	ds_read_b32 v146, v0 offset:7480
	global_load_dwordx4 v[106:109], v110, s[12:13] offset:576
	s_nop 0
	global_load_dwordx4 v[110:113], v110, s[12:13] offset:560
	v_mul_lo_u16_e32 v117, 0x4d, v53
	v_add_u32_e32 v76, 0x14a, v116
	v_sub_u16_e32 v148, v75, v117
	v_lshlrev_b32_e32 v117, 5, v148
	s_waitcnt vmcnt(9) lgkmcnt(14)
	v_mul_f32_e32 v118, v20, v58
	v_mul_f32_e32 v149, v10, v58
	s_waitcnt vmcnt(8)
	v_mul_f32_e32 v151, v18, v79
	v_fma_f32 v152, v10, v57, -v118
	s_waitcnt lgkmcnt(13)
	v_mul_f32_e32 v10, v124, v81
	v_mul_f32_e32 v58, v61, v60
	;; [unrolled: 1-line block ×4, first 2 shown]
	v_fmac_f32_e32 v151, v115, v78
	v_fma_f32 v115, v47, v80, -v10
	s_waitcnt vmcnt(7) lgkmcnt(12)
	v_mul_f32_e32 v10, v126, v83
	v_fma_f32 v153, v45, v82, -v10
	v_mul_u32_u24_sdwa v10, v76, s0 dst_sel:DWORD dst_unused:UNUSED_PAD src0_sel:WORD_0 src1_sel:DWORD
	v_fmac_f32_e32 v149, v20, v57
	v_fma_f32 v49, v49, v59, -v58
	v_fmac_f32_e32 v150, v61, v59
	v_fma_f32 v61, v18, v78, -v60
	global_load_dwordx4 v[57:60], v117, s[12:13] offset:576
	s_nop 0
	global_load_dwordx4 v[117:120], v117, s[12:13] offset:560
	v_lshrrev_b32_e32 v10, 19, v10
	v_mul_lo_u16_e32 v10, 0x4d, v10
	v_sub_u16_e32 v10, v76, v10
	v_mul_f32_e32 v47, v47, v81
	v_lshlrev_b32_e32 v20, 5, v10
	v_fmac_f32_e32 v47, v124, v80
	global_load_dwordx4 v[78:81], v20, s[12:13] offset:576
	global_load_dwordx4 v[121:124], v20, s[12:13] offset:560
	v_mul_f32_e32 v45, v45, v83
	v_mul_f32_e32 v18, v62, v85
	v_fmac_f32_e32 v45, v126, v82
	v_fma_f32 v82, v50, v84, -v18
	v_mul_f32_e32 v50, v50, v85
	s_waitcnt vmcnt(10) lgkmcnt(11)
	v_mul_f32_e32 v18, v128, v87
	v_fmac_f32_e32 v50, v62, v84
	v_fma_f32 v62, v43, v86, -v18
	v_mul_f32_e32 v18, v125, v89
	v_fma_f32 v83, v48, v88, -v18
	v_mov_b32_e32 v18, 2
	s_waitcnt vmcnt(8)
	v_mul_f32_e32 v20, v127, v95
	v_lshlrev_b32_sdwa v18, v18, v65 dst_sel:DWORD dst_unused:UNUSED_PAD src0_sel:DWORD src1_sel:BYTE_0
	v_fma_f32 v65, v46, v94, -v20
	s_waitcnt lgkmcnt(9)
	v_mul_f32_e32 v20, v130, v97
	v_mul_f32_e32 v43, v43, v87
	v_fma_f32 v84, v41, v96, -v20
	v_mul_f32_e32 v20, v129, v91
	v_fmac_f32_e32 v43, v128, v86
	v_fma_f32 v86, v44, v90, -v20
	s_waitcnt lgkmcnt(8)
	v_mul_f32_e32 v20, v132, v93
	v_fma_f32 v87, v39, v92, -v20
	s_waitcnt vmcnt(6) lgkmcnt(7)
	v_mul_f32_e32 v20, v134, v103
	v_mul_f32_e32 v48, v48, v89
	v_fma_f32 v89, v37, v102, -v20
	v_mul_f32_e32 v20, v131, v105
	v_mul_f32_e32 v46, v46, v95
	;; [unrolled: 1-line block ×3, first 2 shown]
	v_fma_f32 v91, v42, v104, -v20
	s_waitcnt lgkmcnt(6)
	v_mul_f32_e32 v20, v136, v99
	v_fmac_f32_e32 v48, v125, v88
	v_fmac_f32_e32 v46, v127, v94
	v_mul_f32_e32 v85, v41, v97
	v_mul_f32_e32 v88, v39, v93
	v_fma_f32 v93, v35, v98, -v20
	v_mul_f32_e32 v94, v35, v99
	s_waitcnt vmcnt(4)
	v_mul_f32_e32 v35, v135, v111
	v_fmac_f32_e32 v85, v130, v96
	v_mul_f32_e32 v20, v133, v101
	v_mul_f32_e32 v96, v40, v101
	v_fma_f32 v97, v38, v110, -v35
	s_waitcnt lgkmcnt(4)
	v_mul_f32_e32 v35, v138, v113
	v_fma_f32 v95, v40, v100, -v20
	v_fmac_f32_e32 v96, v133, v100
	v_fma_f32 v99, v31, v112, -v35
	v_mul_f32_e32 v100, v31, v113
	v_mul_f32_e32 v31, v137, v107
	v_fmac_f32_e32 v44, v129, v90
	v_mul_f32_e32 v90, v37, v103
	v_fma_f32 v101, v36, v106, -v31
	s_waitcnt lgkmcnt(3)
	v_mul_f32_e32 v31, v140, v109
	v_fmac_f32_e32 v90, v134, v102
	v_mul_f32_e32 v102, v36, v107
	v_fma_f32 v103, v29, v108, -v31
	v_fmac_f32_e32 v88, v132, v92
	v_mul_f32_e32 v92, v42, v105
	v_fmac_f32_e32 v102, v137, v106
	v_fmac_f32_e32 v92, v131, v104
	v_mul_f32_e32 v104, v29, v109
	v_fmac_f32_e32 v94, v136, v98
	v_mul_f32_e32 v98, v38, v111
	v_fmac_f32_e32 v104, v140, v108
	v_sub_f32_e32 v37, v152, v49
	v_sub_f32_e32 v39, v115, v61
	v_add_f32_e32 v37, v37, v39
	v_fmac_f32_e32 v98, v135, v110
	v_fmac_f32_e32 v100, v138, v112
	v_cmp_lt_u32_e64 s[0:1], 21, v116
	s_waitcnt lgkmcnt(0)
	; wave barrier
	s_waitcnt lgkmcnt(0)
	v_lshlrev_b32_e32 v20, 2, v147
	v_lshlrev_b32_e32 v29, 2, v148
	s_waitcnt vmcnt(2)
	v_mul_f32_e32 v31, v142, v118
	v_fma_f32 v105, v27, v117, -v31
	v_mul_f32_e32 v106, v27, v118
	v_mul_f32_e32 v27, v139, v120
	v_fma_f32 v107, v32, v119, -v27
	v_mul_f32_e32 v27, v144, v58
	v_fma_f32 v109, v23, v57, -v27
	v_mul_f32_e32 v58, v23, v58
	v_mul_f32_e32 v23, v141, v60
	v_fmac_f32_e32 v58, v144, v57
	v_fma_f32 v57, v30, v59, -v23
	s_waitcnt vmcnt(0)
	v_mul_f32_e32 v23, v143, v122
	v_fma_f32 v36, v28, v121, -v23
	v_mul_f32_e32 v23, v114, v124
	v_fma_f32 v38, v17, v123, -v23
	;; [unrolled: 2-line block ×4, first 2 shown]
	v_add_f32_e32 v23, v13, v152
	v_add_f32_e32 v23, v23, v49
	;; [unrolled: 1-line block ×3, first 2 shown]
	v_mul_f32_e32 v31, v24, v79
	v_add_f32_e32 v24, v23, v115
	v_add_f32_e32 v23, v49, v61
	v_mul_f32_e32 v60, v30, v60
	v_fma_f32 v30, -0.5, v23, v13
	v_mul_f32_e32 v108, v32, v120
	v_sub_f32_e32 v23, v149, v47
	v_mov_b32_e32 v32, v30
	v_fmac_f32_e32 v32, 0x3f737871, v23
	v_sub_f32_e32 v27, v150, v151
	v_fmac_f32_e32 v30, 0xbf737871, v23
	v_fmac_f32_e32 v32, 0x3f167918, v27
	;; [unrolled: 1-line block ×5, first 2 shown]
	v_add_f32_e32 v37, v152, v115
	v_fma_f32 v39, -0.5, v37, v13
	v_mov_b32_e32 v40, v39
	v_fmac_f32_e32 v40, 0xbf737871, v27
	v_fmac_f32_e32 v39, 0x3f737871, v27
	;; [unrolled: 1-line block ×4, first 2 shown]
	v_add_f32_e32 v23, v150, v151
	v_fma_f32 v23, -0.5, v23, v21
	v_fmac_f32_e32 v60, v141, v59
	v_sub_f32_e32 v13, v49, v152
	v_sub_f32_e32 v37, v61, v115
	;; [unrolled: 1-line block ×3, first 2 shown]
	v_mov_b32_e32 v27, v23
	v_add_f32_e32 v13, v13, v37
	v_fmac_f32_e32 v27, 0xbf737871, v59
	v_sub_f32_e32 v49, v49, v61
	v_sub_f32_e32 v37, v149, v150
	v_sub_f32_e32 v61, v47, v151
	v_fmac_f32_e32 v23, 0x3f737871, v59
	v_fmac_f32_e32 v27, 0xbf167918, v49
	v_add_f32_e32 v37, v37, v61
	v_fmac_f32_e32 v23, 0x3f167918, v49
	v_fmac_f32_e32 v27, 0x3e9e377a, v37
	;; [unrolled: 1-line block ×3, first 2 shown]
	v_add_f32_e32 v37, v149, v47
	v_fmac_f32_e32 v40, 0x3e9e377a, v13
	v_fmac_f32_e32 v39, 0x3e9e377a, v13
	v_add_f32_e32 v13, v21, v149
	v_fma_f32 v21, -0.5, v37, v21
	v_add_f32_e32 v13, v13, v150
	v_mov_b32_e32 v37, v21
	v_add_f32_e32 v13, v13, v151
	v_fmac_f32_e32 v37, 0x3f737871, v49
	v_fmac_f32_e32 v21, 0xbf737871, v49
	v_add_f32_e32 v49, v82, v62
	v_add_f32_e32 v13, v13, v47
	v_sub_f32_e32 v61, v150, v149
	v_sub_f32_e32 v47, v151, v47
	v_fma_f32 v49, -0.5, v49, v14
	v_fmac_f32_e32 v37, 0xbf167918, v59
	v_add_f32_e32 v47, v61, v47
	v_fmac_f32_e32 v21, 0x3f167918, v59
	v_sub_f32_e32 v59, v45, v48
	v_mov_b32_e32 v61, v49
	v_fmac_f32_e32 v31, v145, v78
	v_mul_f32_e32 v35, v77, v81
	v_fmac_f32_e32 v61, 0x3f737871, v59
	v_sub_f32_e32 v77, v50, v43
	v_sub_f32_e32 v78, v153, v82
	;; [unrolled: 1-line block ×3, first 2 shown]
	v_fmac_f32_e32 v49, 0xbf737871, v59
	v_fmac_f32_e32 v61, 0x3f167918, v77
	v_add_f32_e32 v78, v78, v79
	v_fmac_f32_e32 v49, 0xbf167918, v77
	v_fmac_f32_e32 v61, 0x3e9e377a, v78
	;; [unrolled: 1-line block ×3, first 2 shown]
	v_add_f32_e32 v78, v153, v83
	v_fmac_f32_e32 v37, 0x3e9e377a, v47
	v_fmac_f32_e32 v21, 0x3e9e377a, v47
	v_add_f32_e32 v47, v14, v153
	v_fmac_f32_e32 v14, -0.5, v78
	v_mov_b32_e32 v78, v14
	v_fmac_f32_e32 v78, 0xbf737871, v77
	v_fmac_f32_e32 v14, 0x3f737871, v77
	v_fmac_f32_e32 v78, 0x3f167918, v59
	v_fmac_f32_e32 v14, 0xbf167918, v59
	v_add_f32_e32 v59, v22, v45
	v_add_f32_e32 v59, v59, v50
	v_fmac_f32_e32 v35, v146, v80
	v_sub_f32_e32 v79, v82, v153
	v_sub_f32_e32 v80, v62, v83
	v_add_f32_e32 v59, v59, v43
	v_add_f32_e32 v79, v79, v80
	;; [unrolled: 1-line block ×4, first 2 shown]
	v_fmac_f32_e32 v78, 0x3e9e377a, v79
	v_fmac_f32_e32 v14, 0x3e9e377a, v79
	v_fma_f32 v79, -0.5, v59, v22
	v_add_f32_e32 v47, v47, v82
	v_sub_f32_e32 v59, v153, v83
	v_mov_b32_e32 v80, v79
	v_add_f32_e32 v47, v47, v62
	v_fmac_f32_e32 v80, 0xbf737871, v59
	v_sub_f32_e32 v62, v82, v62
	v_sub_f32_e32 v81, v45, v50
	;; [unrolled: 1-line block ×3, first 2 shown]
	v_fmac_f32_e32 v79, 0x3f737871, v59
	v_fmac_f32_e32 v80, 0xbf167918, v62
	v_add_f32_e32 v81, v81, v82
	v_fmac_f32_e32 v79, 0x3f167918, v62
	v_fmac_f32_e32 v80, 0x3e9e377a, v81
	;; [unrolled: 1-line block ×3, first 2 shown]
	v_add_f32_e32 v81, v45, v48
	v_sub_f32_e32 v45, v50, v45
	v_sub_f32_e32 v43, v43, v48
	v_fmac_f32_e32 v22, -0.5, v81
	v_add_f32_e32 v43, v45, v43
	v_add_f32_e32 v45, v84, v86
	v_mov_b32_e32 v81, v22
	v_fma_f32 v45, -0.5, v45, v15
	v_fmac_f32_e32 v81, 0x3f737871, v62
	v_fmac_f32_e32 v22, 0xbf737871, v62
	v_sub_f32_e32 v48, v46, v88
	v_mov_b32_e32 v50, v45
	v_fmac_f32_e32 v81, 0xbf167918, v59
	v_fmac_f32_e32 v22, 0x3f167918, v59
	;; [unrolled: 1-line block ×3, first 2 shown]
	v_sub_f32_e32 v59, v85, v44
	v_sub_f32_e32 v62, v65, v84
	;; [unrolled: 1-line block ×3, first 2 shown]
	v_fmac_f32_e32 v45, 0xbf737871, v48
	v_fmac_f32_e32 v50, 0x3f167918, v59
	v_add_f32_e32 v62, v62, v82
	v_fmac_f32_e32 v45, 0xbf167918, v59
	v_fmac_f32_e32 v50, 0x3e9e377a, v62
	;; [unrolled: 1-line block ×3, first 2 shown]
	v_add_f32_e32 v62, v65, v87
	v_fmac_f32_e32 v81, 0x3e9e377a, v43
	v_fmac_f32_e32 v22, 0x3e9e377a, v43
	v_add_f32_e32 v43, v15, v65
	v_fma_f32 v15, -0.5, v62, v15
	v_mov_b32_e32 v62, v15
	v_fmac_f32_e32 v62, 0xbf737871, v59
	v_fmac_f32_e32 v15, 0x3f737871, v59
	;; [unrolled: 1-line block ×4, first 2 shown]
	v_add_f32_e32 v48, v25, v46
	v_add_f32_e32 v47, v47, v83
	v_sub_f32_e32 v82, v84, v65
	v_sub_f32_e32 v83, v86, v87
	v_add_f32_e32 v48, v48, v85
	v_add_f32_e32 v82, v82, v83
	;; [unrolled: 1-line block ×4, first 2 shown]
	v_fmac_f32_e32 v62, 0x3e9e377a, v82
	v_fmac_f32_e32 v15, 0x3e9e377a, v82
	v_add_f32_e32 v82, v48, v88
	v_add_f32_e32 v48, v85, v44
	;; [unrolled: 1-line block ×3, first 2 shown]
	v_fma_f32 v83, -0.5, v48, v25
	v_add_f32_e32 v43, v43, v87
	v_sub_f32_e32 v48, v65, v87
	v_mov_b32_e32 v87, v83
	v_fmac_f32_e32 v87, 0xbf737871, v48
	v_sub_f32_e32 v59, v84, v86
	v_sub_f32_e32 v65, v46, v85
	;; [unrolled: 1-line block ×3, first 2 shown]
	v_fmac_f32_e32 v83, 0x3f737871, v48
	v_fmac_f32_e32 v87, 0xbf167918, v59
	v_add_f32_e32 v65, v65, v84
	v_fmac_f32_e32 v83, 0x3f167918, v59
	v_fmac_f32_e32 v87, 0x3e9e377a, v65
	;; [unrolled: 1-line block ×3, first 2 shown]
	v_add_f32_e32 v65, v46, v88
	v_fma_f32 v84, -0.5, v65, v25
	v_sub_f32_e32 v25, v85, v46
	v_sub_f32_e32 v44, v44, v88
	v_mov_b32_e32 v86, v84
	v_add_f32_e32 v25, v25, v44
	v_add_f32_e32 v44, v91, v93
	v_fmac_f32_e32 v86, 0x3f737871, v59
	v_fmac_f32_e32 v84, 0xbf737871, v59
	v_fma_f32 v44, -0.5, v44, v16
	v_fmac_f32_e32 v86, 0xbf167918, v48
	v_fmac_f32_e32 v84, 0x3f167918, v48
	v_sub_f32_e32 v46, v90, v96
	v_mov_b32_e32 v48, v44
	v_fmac_f32_e32 v48, 0x3f737871, v46
	v_sub_f32_e32 v59, v92, v94
	v_sub_f32_e32 v65, v89, v91
	;; [unrolled: 1-line block ×3, first 2 shown]
	v_fmac_f32_e32 v44, 0xbf737871, v46
	v_fmac_f32_e32 v48, 0x3f167918, v59
	v_add_f32_e32 v65, v65, v85
	v_fmac_f32_e32 v44, 0xbf167918, v59
	v_fmac_f32_e32 v48, 0x3e9e377a, v65
	;; [unrolled: 1-line block ×3, first 2 shown]
	v_add_f32_e32 v65, v89, v95
	v_fmac_f32_e32 v86, 0x3e9e377a, v25
	v_fmac_f32_e32 v84, 0x3e9e377a, v25
	v_add_f32_e32 v25, v16, v89
	v_fmac_f32_e32 v16, -0.5, v65
	v_mov_b32_e32 v65, v16
	v_fmac_f32_e32 v65, 0xbf737871, v59
	v_fmac_f32_e32 v16, 0x3f737871, v59
	;; [unrolled: 1-line block ×4, first 2 shown]
	v_add_f32_e32 v46, v26, v90
	v_sub_f32_e32 v85, v91, v89
	v_sub_f32_e32 v88, v93, v95
	v_add_f32_e32 v46, v46, v92
	v_add_f32_e32 v85, v85, v88
	;; [unrolled: 1-line block ×3, first 2 shown]
	v_fmac_f32_e32 v65, 0x3e9e377a, v85
	v_fmac_f32_e32 v16, 0x3e9e377a, v85
	v_add_f32_e32 v85, v46, v96
	v_add_f32_e32 v46, v92, v94
	v_fma_f32 v88, -0.5, v46, v26
	v_add_f32_e32 v25, v25, v91
	v_sub_f32_e32 v46, v89, v95
	v_mov_b32_e32 v89, v88
	v_add_f32_e32 v25, v25, v93
	v_fmac_f32_e32 v89, 0xbf737871, v46
	v_sub_f32_e32 v59, v91, v93
	v_sub_f32_e32 v91, v90, v92
	;; [unrolled: 1-line block ×3, first 2 shown]
	v_fmac_f32_e32 v88, 0x3f737871, v46
	v_fmac_f32_e32 v89, 0xbf167918, v59
	v_add_f32_e32 v91, v91, v93
	v_fmac_f32_e32 v88, 0x3f167918, v59
	v_fmac_f32_e32 v89, 0x3e9e377a, v91
	;; [unrolled: 1-line block ×3, first 2 shown]
	v_add_f32_e32 v91, v90, v96
	v_fmac_f32_e32 v26, -0.5, v91
	v_mov_b32_e32 v91, v26
	v_fmac_f32_e32 v91, 0x3f737871, v59
	v_sub_f32_e32 v90, v92, v90
	v_sub_f32_e32 v92, v94, v96
	v_fmac_f32_e32 v26, 0xbf737871, v59
	v_add_f32_e32 v59, v99, v101
	v_fmac_f32_e32 v91, 0xbf167918, v46
	v_add_f32_e32 v90, v90, v92
	v_fmac_f32_e32 v26, 0x3f167918, v46
	v_fma_f32 v59, -0.5, v59, v11
	v_fmac_f32_e32 v91, 0x3e9e377a, v90
	v_fmac_f32_e32 v26, 0x3e9e377a, v90
	v_sub_f32_e32 v90, v98, v104
	v_mov_b32_e32 v92, v59
	v_add_f32_e32 v25, v25, v95
	v_fmac_f32_e32 v92, 0x3f737871, v90
	v_sub_f32_e32 v93, v100, v102
	v_sub_f32_e32 v94, v97, v99
	v_sub_f32_e32 v95, v103, v101
	v_fmac_f32_e32 v59, 0xbf737871, v90
	v_fmac_f32_e32 v92, 0x3f167918, v93
	v_add_f32_e32 v94, v94, v95
	v_fmac_f32_e32 v59, 0xbf167918, v93
	v_fmac_f32_e32 v92, 0x3e9e377a, v94
	;; [unrolled: 1-line block ×3, first 2 shown]
	v_add_f32_e32 v94, v97, v103
	v_add_f32_e32 v46, v11, v97
	v_fma_f32 v11, -0.5, v94, v11
	v_mov_b32_e32 v94, v11
	v_fmac_f32_e32 v94, 0xbf737871, v93
	v_sub_f32_e32 v95, v99, v97
	v_sub_f32_e32 v96, v101, v103
	v_fmac_f32_e32 v11, 0x3f737871, v93
	v_add_f32_e32 v93, v100, v102
	v_fmac_f32_e32 v94, 0x3f167918, v90
	v_add_f32_e32 v95, v95, v96
	v_fmac_f32_e32 v11, 0xbf167918, v90
	v_fma_f32 v93, -0.5, v93, v33
	v_add_f32_e32 v46, v46, v99
	v_fmac_f32_e32 v94, 0x3e9e377a, v95
	v_fmac_f32_e32 v11, 0x3e9e377a, v95
	v_sub_f32_e32 v95, v97, v103
	v_mov_b32_e32 v96, v93
	v_add_f32_e32 v46, v46, v101
	v_fmac_f32_e32 v96, 0xbf737871, v95
	v_sub_f32_e32 v97, v99, v101
	v_sub_f32_e32 v99, v98, v100
	;; [unrolled: 1-line block ×3, first 2 shown]
	v_fmac_f32_e32 v93, 0x3f737871, v95
	v_fmac_f32_e32 v96, 0xbf167918, v97
	v_add_f32_e32 v99, v99, v101
	v_fmac_f32_e32 v93, 0x3f167918, v97
	v_fmac_f32_e32 v96, 0x3e9e377a, v99
	v_fmac_f32_e32 v93, 0x3e9e377a, v99
	v_add_f32_e32 v99, v98, v104
	v_fma_f32 v99, -0.5, v99, v33
	v_mov_b32_e32 v101, v99
	v_fmac_f32_e32 v101, 0x3f737871, v97
	v_fmac_f32_e32 v99, 0xbf737871, v97
	;; [unrolled: 1-line block ×4, first 2 shown]
	v_add_f32_e32 v95, v107, v109
	v_fmac_f32_e32 v106, v142, v117
	v_add_f32_e32 v90, v33, v98
	v_sub_f32_e32 v33, v100, v98
	v_sub_f32_e32 v98, v102, v104
	v_fma_f32 v95, -0.5, v95, v12
	v_fmac_f32_e32 v108, v139, v119
	v_add_f32_e32 v90, v90, v100
	v_add_f32_e32 v33, v33, v98
	v_sub_f32_e32 v97, v106, v60
	v_mov_b32_e32 v98, v95
	v_add_f32_e32 v46, v46, v103
	v_add_f32_e32 v90, v90, v102
	v_fmac_f32_e32 v98, 0x3f737871, v97
	v_sub_f32_e32 v100, v108, v58
	v_sub_f32_e32 v102, v105, v107
	;; [unrolled: 1-line block ×3, first 2 shown]
	v_fmac_f32_e32 v95, 0xbf737871, v97
	v_fmac_f32_e32 v98, 0x3f167918, v100
	v_add_f32_e32 v102, v102, v103
	v_fmac_f32_e32 v95, 0xbf167918, v100
	v_fmac_f32_e32 v98, 0x3e9e377a, v102
	;; [unrolled: 1-line block ×3, first 2 shown]
	v_add_f32_e32 v102, v105, v57
	v_fmac_f32_e32 v101, 0x3e9e377a, v33
	v_fmac_f32_e32 v99, 0x3e9e377a, v33
	v_add_f32_e32 v33, v12, v105
	v_fmac_f32_e32 v12, -0.5, v102
	v_mov_b32_e32 v102, v12
	v_add_f32_e32 v90, v90, v104
	v_add_f32_e32 v33, v33, v107
	v_fmac_f32_e32 v102, 0xbf737871, v100
	v_sub_f32_e32 v103, v107, v105
	v_sub_f32_e32 v104, v109, v57
	v_fmac_f32_e32 v12, 0x3f737871, v100
	v_add_f32_e32 v100, v108, v58
	v_add_f32_e32 v33, v33, v109
	v_fmac_f32_e32 v102, 0x3f167918, v97
	v_add_f32_e32 v103, v103, v104
	v_fmac_f32_e32 v12, 0xbf167918, v97
	v_fma_f32 v100, -0.5, v100, v34
	v_add_f32_e32 v33, v33, v57
	v_fmac_f32_e32 v102, 0x3e9e377a, v103
	v_fmac_f32_e32 v12, 0x3e9e377a, v103
	v_sub_f32_e32 v57, v105, v57
	v_mov_b32_e32 v103, v100
	v_fmac_f32_e32 v103, 0xbf737871, v57
	v_sub_f32_e32 v104, v107, v109
	v_sub_f32_e32 v105, v106, v108
	v_sub_f32_e32 v107, v60, v58
	v_fmac_f32_e32 v100, 0x3f737871, v57
	v_fmac_f32_e32 v103, 0xbf167918, v104
	v_add_f32_e32 v105, v105, v107
	v_fmac_f32_e32 v100, 0x3f167918, v104
	v_fmac_f32_e32 v103, 0x3e9e377a, v105
	;; [unrolled: 1-line block ×3, first 2 shown]
	v_add_f32_e32 v105, v106, v60
	v_add_f32_e32 v97, v34, v106
	v_fmac_f32_e32 v34, -0.5, v105
	v_add_f32_e32 v97, v97, v108
	v_mov_b32_e32 v105, v34
	v_add_f32_e32 v97, v97, v58
	v_fmac_f32_e32 v105, 0x3f737871, v104
	v_sub_f32_e32 v106, v108, v106
	v_sub_f32_e32 v58, v58, v60
	v_fmac_f32_e32 v34, 0xbf737871, v104
	v_fmac_f32_e32 v105, 0xbf167918, v57
	v_add_f32_e32 v58, v106, v58
	v_fmac_f32_e32 v34, 0x3f167918, v57
	v_mul_f32_e32 v28, v28, v122
	v_fmac_f32_e32 v105, 0x3e9e377a, v58
	v_fmac_f32_e32 v34, 0x3e9e377a, v58
	v_add_f32_e32 v58, v38, v41
	v_fmac_f32_e32 v28, v143, v121
	v_mul_f32_e32 v17, v17, v124
	v_fma_f32 v58, -0.5, v58, v9
	v_fmac_f32_e32 v17, v114, v123
	v_add_f32_e32 v97, v97, v60
	v_sub_f32_e32 v60, v28, v35
	v_mov_b32_e32 v104, v58
	v_fmac_f32_e32 v104, 0x3f737871, v60
	v_sub_f32_e32 v106, v17, v31
	v_sub_f32_e32 v107, v36, v38
	;; [unrolled: 1-line block ×3, first 2 shown]
	v_fmac_f32_e32 v58, 0xbf737871, v60
	v_fmac_f32_e32 v104, 0x3f167918, v106
	v_add_f32_e32 v107, v107, v108
	v_fmac_f32_e32 v58, 0xbf167918, v106
	v_fmac_f32_e32 v104, 0x3e9e377a, v107
	;; [unrolled: 1-line block ×3, first 2 shown]
	v_add_f32_e32 v107, v36, v42
	v_add_f32_e32 v57, v9, v36
	v_fmac_f32_e32 v9, -0.5, v107
	v_mov_b32_e32 v107, v9
	v_fmac_f32_e32 v107, 0xbf737871, v106
	v_fmac_f32_e32 v9, 0x3f737871, v106
	;; [unrolled: 1-line block ×4, first 2 shown]
	v_add_f32_e32 v60, v19, v28
	v_add_f32_e32 v60, v60, v17
	v_sub_f32_e32 v108, v38, v36
	v_sub_f32_e32 v109, v41, v42
	v_add_f32_e32 v60, v60, v31
	v_add_f32_e32 v57, v57, v38
	;; [unrolled: 1-line block ×6, first 2 shown]
	v_fmac_f32_e32 v107, 0x3e9e377a, v108
	v_fmac_f32_e32 v9, 0x3e9e377a, v108
	v_fma_f32 v108, -0.5, v60, v19
	v_add_f32_e32 v57, v57, v42
	v_sub_f32_e32 v36, v36, v42
	v_mov_b32_e32 v42, v108
	v_fmac_f32_e32 v42, 0xbf737871, v36
	v_sub_f32_e32 v38, v38, v41
	v_sub_f32_e32 v41, v28, v17
	;; [unrolled: 1-line block ×3, first 2 shown]
	v_fmac_f32_e32 v108, 0x3f737871, v36
	v_fmac_f32_e32 v42, 0xbf167918, v38
	v_add_f32_e32 v41, v41, v60
	v_fmac_f32_e32 v108, 0x3f167918, v38
	v_fmac_f32_e32 v42, 0x3e9e377a, v41
	;; [unrolled: 1-line block ×3, first 2 shown]
	v_add_f32_e32 v41, v28, v35
	v_fmac_f32_e32 v19, -0.5, v41
	v_mov_b32_e32 v109, v19
	v_fmac_f32_e32 v109, 0x3f737871, v38
	v_sub_f32_e32 v17, v17, v28
	v_sub_f32_e32 v28, v31, v35
	v_fmac_f32_e32 v19, 0xbf737871, v38
	v_fmac_f32_e32 v109, 0xbf167918, v36
	v_add_f32_e32 v17, v17, v28
	v_fmac_f32_e32 v19, 0x3f167918, v36
	v_fmac_f32_e32 v109, 0x3e9e377a, v17
	;; [unrolled: 1-line block ×3, first 2 shown]
	v_mov_b32_e32 v17, 0x604
	v_cndmask_b32_e64 v17, 0, v17, s[0:1]
	v_add3_u32 v5, 0, v17, v5
	ds_write2_b32 v0, v24, v32 offset1:77
	ds_write2_b32 v0, v40, v39 offset0:154 offset1:231
	ds_write_b32 v0, v30 offset:1232
	ds_write2_b32 v5, v47, v61 offset1:77
	ds_write2_b32 v5, v78, v14 offset0:154 offset1:231
	ds_write_b32 v5, v49 offset:1232
	v_mul_u32_u24_e32 v14, 0x604, v51
	v_add3_u32 v14, 0, v14, v18
	ds_write2_b32 v14, v43, v50 offset1:77
	ds_write2_b32 v14, v62, v15 offset0:154 offset1:231
	ds_write_b32 v14, v45 offset:1232
	v_lshl_add_u32 v15, v52, 2, 0
	v_add_u32_e32 v43, 0xc00, v15
	ds_write2_b32 v43, v25, v48 offset0:2 offset1:79
	ds_write2_b32 v43, v65, v16 offset0:156 offset1:233
	ds_write_b32 v15, v44 offset:4312
	v_mul_u32_u24_e32 v16, 0x604, v56
	v_add3_u32 v16, 0, v16, v20
	ds_write2_b32 v16, v46, v92 offset1:77
	ds_write2_b32 v16, v94, v11 offset0:154 offset1:231
	ds_write_b32 v16, v59 offset:1232
	v_mul_u32_u24_e32 v11, 0x604, v53
	v_add3_u32 v11, 0, v11, v29
	v_lshl_add_u32 v10, v10, 2, 0
	ds_write2_b32 v11, v33, v98 offset1:77
	ds_write2_b32 v11, v102, v12 offset0:154 offset1:231
	ds_write_b32 v11, v95 offset:1232
	v_add_u32_e32 v12, 0x1800, v10
	ds_write2_b32 v12, v57, v104 offset0:4 offset1:81
	ds_write2_b32 v12, v107, v9 offset0:158 offset1:235
	ds_write_b32 v10, v58 offset:7392
	s_waitcnt lgkmcnt(0)
	; wave barrier
	s_waitcnt lgkmcnt(0)
	ds_read2_b32 v[17:18], v0 offset1:55
	ds_read2_b32 v[24:25], v64 offset0:74 offset1:129
	ds_read2_b32 v[32:33], v63 offset0:2 offset1:57
	ds_read2_b32 v[30:31], v69 offset0:76 offset1:131
	ds_read2_b32 v[28:29], v67 offset0:4 offset1:59
	ds_read2_b32 v[38:39], v64 offset0:184 offset1:239
	ds_read2_b32 v[40:41], v69 offset0:186 offset1:241
	ds_read2_b32 v[46:47], v0 offset0:110 offset1:165
	ds_read2_b32 v[58:59], v63 offset0:112 offset1:167
	ds_read2_b32 v[56:57], v67 offset0:114 offset1:169
	ds_read2_b32 v[64:65], v68 offset0:38 offset1:93
	ds_read2_b32 v[62:63], v70 offset0:40 offset1:95
	ds_read2_b32 v[60:61], v71 offset0:92 offset1:147
	ds_read2_b32 v[50:51], v72 offset0:94 offset1:149
	ds_read2_b32 v[48:49], v74 offset0:96 offset1:151
	ds_read2_b32 v[35:36], v68 offset0:148 offset1:203
	ds_read2_b32 v[52:53], v70 offset0:150 offset1:205
	ds_read_b32 v9, v0 offset:7480
	s_waitcnt lgkmcnt(0)
	; wave barrier
	s_waitcnt lgkmcnt(0)
	ds_write2_b32 v0, v13, v27 offset1:77
	ds_write2_b32 v0, v37, v21 offset0:154 offset1:231
	ds_write_b32 v0, v23 offset:1232
	ds_write2_b32 v5, v77, v80 offset1:77
	ds_write2_b32 v5, v81, v22 offset0:154 offset1:231
	ds_write_b32 v5, v79 offset:1232
	;; [unrolled: 3-line block ×3, first 2 shown]
	ds_write2_b32 v43, v85, v89 offset0:2 offset1:79
	ds_write2_b32 v43, v91, v26 offset0:156 offset1:233
	ds_write_b32 v15, v88 offset:4312
	ds_write2_b32 v16, v90, v96 offset1:77
	ds_write2_b32 v16, v101, v99 offset0:154 offset1:231
	ds_write_b32 v16, v93 offset:1232
	ds_write2_b32 v11, v97, v103 offset1:77
	ds_write2_b32 v11, v105, v34 offset0:154 offset1:231
	ds_write_b32 v11, v100 offset:1232
	ds_write2_b32 v12, v106, v42 offset0:4 offset1:81
	ds_write2_b32 v12, v109, v19 offset0:158 offset1:235
	ds_write_b32 v10, v108 offset:7392
	s_waitcnt lgkmcnt(0)
	; wave barrier
	s_waitcnt lgkmcnt(0)
	s_and_saveexec_b64 s[0:1], vcc
	s_cbranch_execz .LBB0_23
; %bb.22:
	v_lshlrev_b32_e32 v5, 2, v76
	v_lshlrev_b64 v[10:11], 3, v[5:6]
	v_mov_b32_e32 v72, s13
	v_add_co_u32_e32 v14, vcc, s12, v10
	v_addc_co_u32_e32 v15, vcc, v72, v11, vcc
	global_load_dwordx4 v[10:13], v[14:15], off offset:3024
	global_load_dwordx4 v[67:70], v[14:15], off offset:3040
	v_lshlrev_b32_e32 v5, 2, v75
	v_mul_lo_u32 v14, s3, v3
	v_mul_lo_u32 v15, s2, v4
	v_mad_u64_u32 v[21:22], s[0:1], s2, v3, 0
	v_lshlrev_b64 v[3:4], 3, v[5:6]
	v_add_u32_e32 v71, 0x800, v0
	v_add_co_u32_e32 v3, vcc, s12, v3
	v_addc_co_u32_e32 v4, vcc, v72, v4, vcc
	v_add_u32_e32 v74, 0x1000, v0
	ds_read_b32 v16, v0 offset:7480
	v_add_u32_e32 v96, 0x1400, v0
	v_add_u32_e32 v76, 0x400, v0
	ds_read2_b32 v[19:20], v71 offset0:148 offset1:203
	ds_read2_b32 v[44:45], v74 offset0:76 offset1:131
	;; [unrolled: 1-line block ×4, first 2 shown]
	global_load_dwordx4 v[77:80], v[3:4], off offset:3040
	global_load_dwordx4 v[81:84], v[3:4], off offset:3024
	v_add3_u32 v22, v22, v15, v14
	s_mov_b32 s1, 0x551c979b
	v_lshlrev_b64 v[21:22], 3, v[21:22]
	s_movk_i32 s0, 0x1000
	s_waitcnt vmcnt(3) lgkmcnt(3)
	v_mul_f32_e32 v5, v10, v20
	s_waitcnt vmcnt(2)
	v_mul_f32_e32 v23, v69, v16
	s_waitcnt lgkmcnt(2)
	v_mul_f32_e32 v3, v13, v44
	s_waitcnt lgkmcnt(1)
	v_mul_f32_e32 v4, v68, v27
	v_mul_f32_e32 v15, v12, v44
	v_mul_f32_e32 v34, v67, v27
	v_mul_f32_e32 v14, v11, v20
	v_mul_f32_e32 v16, v70, v16
	v_fmac_f32_e32 v5, v36, v11
	v_fmac_f32_e32 v23, v9, v70
	v_fma_f32 v20, v30, v12, -v3
	v_fma_f32 v27, v53, v67, -v4
	v_fmac_f32_e32 v15, v30, v13
	v_fma_f32 v30, v36, v10, -v14
	v_fma_f32 v36, v9, v69, -v16
	v_add_f32_e32 v12, v20, v27
	v_add_f32_e32 v69, v5, v23
	v_sub_f32_e32 v10, v30, v20
	v_sub_f32_e32 v11, v36, v27
	v_fma_f32 v13, -0.5, v12, v24
	s_waitcnt lgkmcnt(0)
	v_fma_f32 v12, -0.5, v69, v42
	v_fmac_f32_e32 v34, v53, v68
	v_sub_f32_e32 v3, v5, v15
	v_sub_f32_e32 v37, v20, v27
	;; [unrolled: 1-line block ×4, first 2 shown]
	v_add_f32_e32 v87, v10, v11
	v_mov_b32_e32 v10, v12
	v_add_f32_e32 v5, v5, v42
	v_sub_f32_e32 v44, v30, v36
	v_sub_f32_e32 v68, v34, v23
	v_fmac_f32_e32 v12, 0x3f737871, v37
	v_fmac_f32_e32 v10, 0xbf737871, v37
	v_add_f32_e32 v5, v15, v5
	v_add_f32_e32 v16, v16, v68
	v_fmac_f32_e32 v12, 0xbf167918, v44
	v_fmac_f32_e32 v10, 0x3f167918, v44
	v_add_f32_e32 v5, v34, v5
	v_fmac_f32_e32 v12, 0x3e9e377a, v16
	v_fmac_f32_e32 v10, 0x3e9e377a, v16
	v_add_f32_e32 v16, v23, v5
	v_add_f32_e32 v5, v24, v30
	v_add_f32_e32 v5, v5, v20
	v_add_f32_e32 v5, v5, v27
	v_add_f32_e32 v9, v15, v34
	v_sub_f32_e32 v67, v15, v34
	v_add_f32_e32 v15, v36, v5
	v_add_u32_e32 v5, 0xe00, v0
	ds_read2_b32 v[89:90], v5 offset0:94 offset1:149
	v_add_u32_e32 v5, 0x1a00, v0
	v_add_f32_e32 v85, v30, v36
	ds_read2_b32 v[91:92], v5 offset0:96 offset1:151
	v_lshlrev_b32_e32 v5, 2, v55
	v_sub_f32_e32 v4, v23, v34
	v_fma_f32 v14, -0.5, v9, v42
	v_fma_f32 v11, -0.5, v85, v24
	v_lshlrev_b64 v[23:24], 3, v[5:6]
	v_add_f32_e32 v86, v3, v4
	v_mov_b32_e32 v4, v14
	v_mov_b32_e32 v3, v13
	;; [unrolled: 1-line block ×3, first 2 shown]
	v_sub_f32_e32 v70, v20, v30
	v_sub_f32_e32 v75, v27, v36
	v_fmac_f32_e32 v11, 0xbf737871, v67
	v_fmac_f32_e32 v4, 0x3f737871, v44
	;; [unrolled: 1-line block ×6, first 2 shown]
	v_add_co_u32_e32 v23, vcc, s12, v23
	v_add_f32_e32 v68, v70, v75
	v_fmac_f32_e32 v4, 0x3f167918, v37
	v_fmac_f32_e32 v3, 0xbf167918, v67
	;; [unrolled: 1-line block ×6, first 2 shown]
	v_addc_co_u32_e32 v24, vcc, v72, v24, vcc
	v_fmac_f32_e32 v4, 0x3e9e377a, v86
	v_fmac_f32_e32 v3, 0x3e9e377a, v87
	;; [unrolled: 1-line block ×6, first 2 shown]
	global_load_dwordx4 v[67:70], v[23:24], off offset:3040
	global_load_dwordx4 v[85:88], v[23:24], off offset:3024
	s_waitcnt vmcnt(2)
	v_mul_f32_e32 v30, v81, v19
	v_mul_f32_e32 v19, v82, v19
	v_fma_f32 v53, v35, v81, -v19
	v_add_u32_e32 v19, 0x200, v0
	ds_read2_b32 v[93:94], v19 offset0:92 offset1:147
	s_waitcnt lgkmcnt(2)
	v_mul_f32_e32 v36, v83, v90
	s_waitcnt lgkmcnt(1)
	v_mul_f32_e32 v37, v79, v92
	v_mul_f32_e32 v42, v77, v26
	v_fmac_f32_e32 v30, v35, v82
	v_fmac_f32_e32 v36, v51, v84
	;; [unrolled: 1-line block ×4, first 2 shown]
	v_sub_f32_e32 v20, v30, v36
	v_sub_f32_e32 v5, v37, v42
	v_mul_f32_e32 v19, v80, v92
	v_add_f32_e32 v5, v20, v5
	v_mul_f32_e32 v20, v84, v90
	v_fma_f32 v49, v49, v79, -v19
	v_add_f32_e32 v19, v36, v42
	v_fma_f32 v44, v51, v83, -v20
	v_mul_f32_e32 v20, v78, v26
	s_waitcnt lgkmcnt(0)
	v_fma_f32 v27, -0.5, v19, v94
	v_fma_f32 v51, v52, v77, -v20
	v_sub_f32_e32 v55, v53, v49
	v_mov_b32_e32 v20, v27
	v_sub_f32_e32 v52, v44, v51
	v_fmac_f32_e32 v20, 0x3f737871, v55
	v_fmac_f32_e32 v27, 0xbf737871, v55
	v_fmac_f32_e32 v20, 0x3f167918, v52
	v_fmac_f32_e32 v27, 0xbf167918, v52
	v_fmac_f32_e32 v20, 0x3e9e377a, v5
	v_fmac_f32_e32 v27, 0x3e9e377a, v5
	v_add_f32_e32 v5, v30, v94
	v_sub_f32_e32 v19, v53, v44
	v_sub_f32_e32 v23, v49, v51
	v_add_f32_e32 v5, v36, v5
	v_add_f32_e32 v75, v19, v23
	v_sub_f32_e32 v23, v36, v30
	v_sub_f32_e32 v24, v42, v37
	v_add_f32_e32 v5, v42, v5
	v_sub_f32_e32 v77, v30, v37
	v_add_f32_e32 v79, v23, v24
	v_add_f32_e32 v23, v30, v37
	;; [unrolled: 1-line block ×5, first 2 shown]
	v_fma_f32 v35, -0.5, v23, v94
	v_sub_f32_e32 v23, v44, v53
	v_sub_f32_e32 v34, v51, v49
	v_add_f32_e32 v5, v5, v51
	v_sub_f32_e32 v78, v36, v42
	v_mov_b32_e32 v24, v35
	v_add_f32_e32 v80, v23, v34
	v_add_f32_e32 v23, v53, v49
	;; [unrolled: 1-line block ×3, first 2 shown]
	v_lshlrev_b32_e32 v5, 2, v54
	v_add_f32_e32 v19, v44, v51
	v_fmac_f32_e32 v24, 0xbf737871, v52
	v_fma_f32 v34, -0.5, v23, v61
	v_fmac_f32_e32 v35, 0x3f737871, v52
	v_lshlrev_b64 v[51:52], 3, v[5:6]
	v_fma_f32 v26, -0.5, v19, v61
	v_mov_b32_e32 v23, v34
	v_mov_b32_e32 v19, v26
	v_fmac_f32_e32 v23, 0x3f737871, v78
	v_fmac_f32_e32 v34, 0xbf737871, v78
	v_add_co_u32_e32 v51, vcc, s12, v51
	v_fmac_f32_e32 v19, 0xbf737871, v77
	v_fmac_f32_e32 v24, 0x3f167918, v55
	;; [unrolled: 1-line block ×6, first 2 shown]
	v_addc_co_u32_e32 v52, vcc, v72, v52, vcc
	v_fmac_f32_e32 v19, 0xbf167918, v78
	v_fmac_f32_e32 v24, 0x3e9e377a, v79
	v_fmac_f32_e32 v23, 0x3e9e377a, v80
	v_fmac_f32_e32 v35, 0x3e9e377a, v79
	v_fmac_f32_e32 v34, 0x3e9e377a, v80
	v_fmac_f32_e32 v26, 0x3f167918, v78
	ds_read2_b32 v[94:95], v71 offset0:38 offset1:93
	global_load_dwordx4 v[77:80], v[51:52], off offset:3040
	global_load_dwordx4 v[81:84], v[51:52], off offset:3024
	ds_read2_b32 v[96:97], v96 offset0:40 offset1:95
	s_waitcnt vmcnt(2)
	v_mul_f32_e32 v30, v87, v89
	v_mul_f32_e32 v44, v69, v91
	s_waitcnt lgkmcnt(1)
	v_mul_f32_e32 v5, v85, v95
	v_fmac_f32_e32 v5, v65, v86
	s_waitcnt lgkmcnt(0)
	v_mul_f32_e32 v61, v67, v97
	v_fmac_f32_e32 v30, v50, v88
	v_fmac_f32_e32 v44, v48, v70
	;; [unrolled: 1-line block ×3, first 2 shown]
	v_sub_f32_e32 v42, v5, v30
	v_sub_f32_e32 v49, v44, v61
	v_add_f32_e32 v42, v42, v49
	v_mul_f32_e32 v49, v88, v89
	v_fma_f32 v71, v50, v87, -v49
	v_mul_f32_e32 v49, v68, v97
	v_fma_f32 v63, v63, v67, -v49
	;; [unrolled: 2-line block ×4, first 2 shown]
	v_add_f32_e32 v48, v30, v61
	v_fma_f32 v53, -0.5, v48, v93
	v_sub_f32_e32 v48, v65, v71
	v_sub_f32_e32 v50, v68, v63
	v_add_f32_e32 v70, v48, v50
	v_sub_f32_e32 v50, v30, v5
	v_sub_f32_e32 v51, v61, v44
	v_fmac_f32_e32 v19, 0x3e9e377a, v75
	v_fmac_f32_e32 v26, 0x3e9e377a, v75
	v_sub_f32_e32 v75, v5, v44
	v_add_f32_e32 v86, v50, v51
	v_add_f32_e32 v50, v5, v44
	;; [unrolled: 1-line block ×5, first 2 shown]
	v_sub_f32_e32 v85, v30, v61
	v_add_f32_e32 v61, v44, v5
	v_add_f32_e32 v5, v60, v65
	v_fma_f32 v55, -0.5, v50, v93
	v_sub_f32_e32 v50, v71, v65
	v_sub_f32_e32 v54, v63, v68
	v_add_f32_e32 v5, v5, v71
	v_add_f32_e32 v48, v71, v63
	v_add_f32_e32 v87, v50, v54
	v_add_f32_e32 v50, v65, v68
	v_add_f32_e32 v5, v5, v63
	v_fma_f32 v52, -0.5, v48, v60
	v_fma_f32 v54, -0.5, v50, v60
	v_add_f32_e32 v60, v68, v5
	v_lshlrev_b32_e32 v5, 2, v66
	v_sub_f32_e32 v69, v65, v68
	v_lshlrev_b64 v[65:66], 3, v[5:6]
	v_sub_f32_e32 v67, v71, v63
	v_mov_b32_e32 v51, v55
	v_mov_b32_e32 v50, v54
	;; [unrolled: 1-line block ×3, first 2 shown]
	v_fmac_f32_e32 v51, 0xbf737871, v67
	v_fmac_f32_e32 v50, 0x3f737871, v85
	;; [unrolled: 1-line block ×4, first 2 shown]
	v_add_co_u32_e32 v65, vcc, s12, v65
	v_fmac_f32_e32 v48, 0xbf737871, v75
	v_fmac_f32_e32 v51, 0x3f167918, v69
	;; [unrolled: 1-line block ×6, first 2 shown]
	v_add_u32_e32 v30, 0xc00, v0
	v_addc_co_u32_e32 v66, vcc, v72, v66, vcc
	v_fmac_f32_e32 v48, 0xbf167918, v85
	v_fmac_f32_e32 v51, 0x3e9e377a, v86
	;; [unrolled: 1-line block ×6, first 2 shown]
	ds_read2_b32 v[97:98], v30 offset0:112 offset1:167
	global_load_dwordx4 v[85:88], v[65:66], off offset:3040
	global_load_dwordx4 v[89:92], v[65:66], off offset:3024
	v_add_u32_e32 v44, 0x1800, v0
	ds_read2_b32 v[99:100], v44 offset0:114 offset1:169
	v_mov_b32_e32 v49, v53
	v_fmac_f32_e32 v49, 0x3f737871, v69
	v_fmac_f32_e32 v53, 0xbf737871, v69
	;; [unrolled: 1-line block ×8, first 2 shown]
	s_waitcnt vmcnt(2) lgkmcnt(1)
	v_mul_f32_e32 v42, v83, v98
	v_mul_f32_e32 v5, v81, v94
	;; [unrolled: 1-line block ×3, first 2 shown]
	s_waitcnt lgkmcnt(0)
	v_mul_f32_e32 v71, v79, v100
	v_fmac_f32_e32 v42, v59, v84
	v_fmac_f32_e32 v5, v64, v82
	;; [unrolled: 1-line block ×4, first 2 shown]
	v_sub_f32_e32 v63, v42, v5
	v_sub_f32_e32 v65, v70, v71
	v_add_f32_e32 v75, v63, v65
	v_mul_f32_e32 v63, v82, v94
	ds_read2_b32 v[93:94], v0 offset0:110 offset1:165
	v_fma_f32 v81, v64, v81, -v63
	v_mul_f32_e32 v63, v80, v100
	v_fma_f32 v57, v57, v79, -v63
	v_add_f32_e32 v63, v5, v71
	s_waitcnt lgkmcnt(0)
	v_fma_f32 v67, -0.5, v63, v94
	v_mul_f32_e32 v63, v84, v98
	v_fma_f32 v59, v59, v83, -v63
	v_mul_f32_e32 v63, v78, v96
	v_fma_f32 v77, v62, v77, -v63
	v_sub_f32_e32 v62, v59, v81
	v_sub_f32_e32 v64, v77, v57
	v_add_f32_e32 v80, v62, v64
	v_sub_f32_e32 v83, v5, v71
	v_sub_f32_e32 v64, v5, v42
	v_add_f32_e32 v5, v5, v94
	v_add_f32_e32 v5, v42, v5
	;; [unrolled: 1-line block ×3, first 2 shown]
	v_sub_f32_e32 v65, v71, v70
	v_add_f32_e32 v71, v71, v5
	v_add_f32_e32 v5, v47, v81
	v_sub_f32_e32 v78, v59, v77
	v_mov_b32_e32 v63, v67
	v_add_f32_e32 v84, v64, v65
	v_add_f32_e32 v64, v42, v70
	;; [unrolled: 1-line block ×3, first 2 shown]
	v_sub_f32_e32 v79, v81, v57
	v_fmac_f32_e32 v63, 0xbf737871, v78
	v_add_f32_e32 v62, v81, v57
	v_fma_f32 v65, -0.5, v64, v94
	v_sub_f32_e32 v64, v81, v59
	v_sub_f32_e32 v68, v57, v77
	v_add_f32_e32 v5, v5, v77
	v_fmac_f32_e32 v67, 0x3f737871, v78
	v_fmac_f32_e32 v63, 0x3f167918, v79
	v_fma_f32 v66, -0.5, v62, v47
	v_sub_f32_e32 v82, v42, v70
	v_add_f32_e32 v96, v64, v68
	v_add_f32_e32 v64, v59, v77
	;; [unrolled: 1-line block ×3, first 2 shown]
	v_fmac_f32_e32 v67, 0xbf167918, v79
	v_lshlrev_b32_e32 v5, 2, v73
	v_fmac_f32_e32 v63, 0x3e9e377a, v75
	v_mov_b32_e32 v62, v66
	v_mov_b32_e32 v69, v65
	v_fma_f32 v64, -0.5, v64, v47
	v_fmac_f32_e32 v67, 0x3e9e377a, v75
	ds_read2_b32 v[94:95], v76 offset0:184 offset1:239
	v_lshlrev_b64 v[75:76], 3, v[5:6]
	v_fmac_f32_e32 v62, 0x3f737871, v82
	v_fmac_f32_e32 v69, 0xbf737871, v79
	v_mov_b32_e32 v68, v64
	v_fmac_f32_e32 v65, 0x3f737871, v79
	v_fmac_f32_e32 v66, 0xbf737871, v82
	;; [unrolled: 1-line block ×8, first 2 shown]
	v_add_co_u32_e32 v83, vcc, s12, v75
	v_fmac_f32_e32 v69, 0x3e9e377a, v84
	v_fmac_f32_e32 v65, 0x3e9e377a, v84
	v_addc_co_u32_e32 v84, vcc, v72, v76, vcc
	v_fmac_f32_e32 v62, 0x3e9e377a, v80
	v_fmac_f32_e32 v68, 0x3f167918, v82
	;; [unrolled: 1-line block ×4, first 2 shown]
	global_load_dwordx4 v[75:78], v[83:84], off offset:3040
	global_load_dwordx4 v[79:82], v[83:84], off offset:3024
	ds_read2_b32 v[72:73], v74 offset0:186 offset1:241
	s_waitcnt vmcnt(2) lgkmcnt(1)
	v_mul_f32_e32 v47, v89, v95
	v_mul_f32_e32 v5, v91, v97
	;; [unrolled: 1-line block ×3, first 2 shown]
	v_fmac_f32_e32 v47, v39, v90
	s_waitcnt lgkmcnt(0)
	v_mul_f32_e32 v59, v85, v73
	v_fmac_f32_e32 v5, v58, v92
	v_fmac_f32_e32 v57, v56, v88
	;; [unrolled: 1-line block ×3, first 2 shown]
	v_sub_f32_e32 v42, v47, v5
	v_sub_f32_e32 v74, v57, v59
	v_add_f32_e32 v83, v42, v74
	v_mul_f32_e32 v42, v92, v97
	v_fma_f32 v58, v58, v91, -v42
	v_mul_f32_e32 v42, v86, v73
	v_fma_f32 v84, v41, v85, -v42
	;; [unrolled: 2-line block ×4, first 2 shown]
	v_add_f32_e32 v41, v5, v59
	v_sub_f32_e32 v87, v5, v47
	v_sub_f32_e32 v88, v59, v57
	v_fmac_f32_e32 v68, 0x3e9e377a, v96
	v_fmac_f32_e32 v64, 0x3e9e377a, v96
	v_fma_f32 v74, -0.5, v41, v93
	v_sub_f32_e32 v41, v39, v58
	v_sub_f32_e32 v73, v95, v84
	v_add_f32_e32 v96, v87, v88
	v_add_f32_e32 v87, v47, v57
	;; [unrolled: 1-line block ×4, first 2 shown]
	v_sub_f32_e32 v91, v47, v57
	v_fma_f32 v88, -0.5, v87, v93
	v_sub_f32_e32 v87, v58, v39
	v_sub_f32_e32 v89, v84, v95
	v_add_f32_e32 v47, v47, v93
	v_fma_f32 v73, -0.5, v41, v46
	v_sub_f32_e32 v92, v5, v59
	v_add_f32_e32 v97, v87, v89
	v_add_f32_e32 v87, v39, v95
	;; [unrolled: 1-line block ×3, first 2 shown]
	v_sub_f32_e32 v56, v39, v95
	v_mov_b32_e32 v42, v74
	v_mov_b32_e32 v41, v73
	v_fma_f32 v87, -0.5, v87, v46
	v_add_f32_e32 v5, v59, v5
	v_sub_f32_e32 v85, v58, v84
	v_fmac_f32_e32 v42, 0x3f737871, v56
	v_fmac_f32_e32 v41, 0xbf737871, v91
	v_mov_b32_e32 v90, v88
	v_mov_b32_e32 v89, v87
	v_fmac_f32_e32 v74, 0xbf737871, v56
	v_fmac_f32_e32 v73, 0x3f737871, v91
	v_add_f32_e32 v47, v57, v5
	v_add_f32_e32 v5, v46, v39
	v_fmac_f32_e32 v42, 0x3f167918, v85
	v_fmac_f32_e32 v41, 0xbf167918, v92
	;; [unrolled: 1-line block ×8, first 2 shown]
	v_add_f32_e32 v5, v5, v58
	v_fmac_f32_e32 v42, 0x3e9e377a, v83
	v_fmac_f32_e32 v41, 0x3e9e377a, v86
	;; [unrolled: 1-line block ×8, first 2 shown]
	v_add_f32_e32 v5, v5, v84
	ds_read2_b32 v[91:92], v30 offset0:2 offset1:57
	global_load_dwordx4 v[56:59], v[7:8], off offset:3040
	global_load_dwordx4 v[83:86], v[7:8], off offset:3024
	ds_read2_b32 v[7:8], v44 offset0:4 offset1:59
	v_add_f32_e32 v46, v95, v5
	s_waitcnt vmcnt(3)
	v_mul_f32_e32 v95, v75, v72
	s_waitcnt vmcnt(2)
	v_mul_f32_e32 v5, v79, v94
	s_waitcnt lgkmcnt(1)
	v_mul_f32_e32 v44, v81, v92
	s_waitcnt lgkmcnt(0)
	v_mul_f32_e32 v93, v77, v8
	v_fmac_f32_e32 v5, v38, v80
	v_fmac_f32_e32 v44, v33, v82
	;; [unrolled: 1-line block ×4, first 2 shown]
	v_sub_f32_e32 v30, v5, v44
	v_sub_f32_e32 v39, v93, v95
	v_fmac_f32_e32 v90, 0x3e9e377a, v96
	v_fmac_f32_e32 v88, 0x3e9e377a, v96
	v_add_f32_e32 v96, v30, v39
	v_mul_f32_e32 v30, v82, v92
	v_fma_f32 v33, v33, v81, -v30
	v_mul_f32_e32 v30, v76, v72
	v_fma_f32 v72, v40, v75, -v30
	;; [unrolled: 2-line block ×3, first 2 shown]
	ds_read2_b32 v[38:39], v0 offset1:55
	v_mul_f32_e32 v0, v78, v8
	v_fma_f32 v0, v29, v77, -v0
	v_add_f32_e32 v29, v44, v95
	v_sub_f32_e32 v40, v0, v72
	s_waitcnt lgkmcnt(0)
	v_fma_f32 v30, -0.5, v29, v39
	v_sub_f32_e32 v29, v82, v33
	v_add_f32_e32 v92, v29, v40
	v_sub_f32_e32 v40, v44, v5
	v_sub_f32_e32 v77, v95, v93
	v_add_f32_e32 v40, v40, v77
	v_add_f32_e32 v77, v5, v93
	v_fma_f32 v78, -0.5, v77, v39
	v_sub_f32_e32 v81, v33, v72
	v_sub_f32_e32 v94, v5, v93
	v_mov_b32_e32 v80, v78
	v_add_f32_e32 v5, v5, v39
	v_sub_f32_e32 v8, v82, v0
	v_fmac_f32_e32 v80, 0xbf737871, v81
	v_fmac_f32_e32 v78, 0x3f737871, v81
	v_add_f32_e32 v5, v44, v5
	v_fmac_f32_e32 v80, 0x3f167918, v8
	v_fmac_f32_e32 v78, 0xbf167918, v8
	v_add_f32_e32 v5, v95, v5
	;; [unrolled: 3-line block ×3, first 2 shown]
	v_add_f32_e32 v5, v18, v82
	v_sub_f32_e32 v77, v33, v82
	v_sub_f32_e32 v79, v72, v0
	v_add_f32_e32 v5, v5, v33
	v_add_f32_e32 v29, v33, v72
	;; [unrolled: 1-line block ×5, first 2 shown]
	v_fma_f32 v29, -0.5, v29, v18
	v_fma_f32 v77, -0.5, v77, v18
	v_add_f32_e32 v39, v0, v5
	v_mov_b32_e32 v76, v30
	v_fmac_f32_e32 v89, 0x3e9e377a, v97
	v_fmac_f32_e32 v87, 0x3e9e377a, v97
	;; [unrolled: 1-line block ×3, first 2 shown]
	v_sub_f32_e32 v97, v44, v95
	v_fmac_f32_e32 v30, 0xbf737871, v8
	v_fmac_f32_e32 v76, 0x3f167918, v81
	;; [unrolled: 1-line block ×3, first 2 shown]
	v_add_co_u32_e32 v21, vcc, s10, v21
	v_mov_b32_e32 v75, v29
	v_fmac_f32_e32 v29, 0x3f737871, v94
	v_fmac_f32_e32 v29, 0x3f167918, v97
	;; [unrolled: 1-line block ×4, first 2 shown]
	v_mov_b32_e32 v79, v77
	v_fmac_f32_e32 v77, 0xbf737871, v97
	v_fmac_f32_e32 v77, 0x3f167918, v94
	;; [unrolled: 1-line block ×3, first 2 shown]
	s_waitcnt vmcnt(1)
	v_mul_f32_e32 v18, v58, v7
	s_waitcnt vmcnt(0)
	v_mul_f32_e32 v0, v83, v43
	v_mul_f32_e32 v5, v85, v91
	;; [unrolled: 1-line block ×3, first 2 shown]
	v_fmac_f32_e32 v0, v25, v84
	v_fmac_f32_e32 v5, v32, v86
	;; [unrolled: 1-line block ×4, first 2 shown]
	v_sub_f32_e32 v8, v0, v5
	v_sub_f32_e32 v44, v18, v33
	v_add_f32_e32 v72, v8, v44
	v_mul_f32_e32 v8, v86, v91
	v_fma_f32 v81, v32, v85, -v8
	v_mul_f32_e32 v8, v57, v45
	v_fma_f32 v45, v31, v56, -v8
	v_mul_f32_e32 v8, v84, v43
	v_sub_f32_e32 v43, v5, v0
	v_sub_f32_e32 v44, v33, v18
	v_fma_f32 v25, v25, v83, -v8
	v_sub_f32_e32 v83, v0, v18
	v_add_f32_e32 v85, v43, v44
	v_add_f32_e32 v43, v0, v18
	;; [unrolled: 1-line block ×3, first 2 shown]
	v_mul_f32_e32 v7, v59, v7
	v_add_f32_e32 v0, v5, v0
	v_fma_f32 v28, v28, v58, -v7
	v_add_f32_e32 v7, v5, v33
	v_sub_f32_e32 v84, v5, v33
	v_add_f32_e32 v0, v33, v0
	v_mul_hi_u32 v5, v116, s1
	v_add_f32_e32 v18, v18, v0
	v_add_f32_e32 v0, v17, v25
	v_fma_f32 v8, -0.5, v7, v38
	v_sub_f32_e32 v7, v25, v81
	v_sub_f32_e32 v31, v28, v45
	v_fma_f32 v44, -0.5, v43, v38
	v_sub_f32_e32 v43, v81, v25
	v_sub_f32_e32 v56, v45, v28
	v_add_f32_e32 v0, v0, v81
	v_add_f32_e32 v59, v7, v31
	;; [unrolled: 1-line block ×6, first 2 shown]
	v_fma_f32 v7, -0.5, v7, v17
	v_fma_f32 v43, -0.5, v43, v17
	v_add_f32_e32 v17, v28, v0
	v_lshrrev_b32_e32 v0, 7, v5
	v_mul_u32_u24_e32 v0, 0x181, v0
	v_sub_u32_e32 v5, v116, v0
	v_mov_b32_e32 v0, s11
	v_addc_co_u32_e32 v22, vcc, v0, v22, vcc
	v_lshlrev_b64 v[0:1], 3, v[1:2]
	v_sub_f32_e32 v58, v25, v28
	v_add_co_u32_e32 v2, vcc, v21, v0
	v_mov_b32_e32 v31, v7
	v_fmac_f32_e32 v7, 0x3f737871, v83
	v_addc_co_u32_e32 v21, vcc, v22, v1, vcc
	v_lshlrev_b32_e32 v0, 3, v5
	v_sub_f32_e32 v82, v81, v45
	v_mov_b32_e32 v32, v8
	v_fmac_f32_e32 v8, 0xbf737871, v58
	v_fmac_f32_e32 v7, 0x3f167918, v84
	v_add_co_u32_e32 v0, vcc, v2, v0
	v_mov_b32_e32 v57, v44
	v_mov_b32_e32 v56, v43
	v_fmac_f32_e32 v44, 0x3f737871, v82
	v_fmac_f32_e32 v43, 0xbf737871, v84
	;; [unrolled: 1-line block ×4, first 2 shown]
	v_addc_co_u32_e32 v1, vcc, 0, v21, vcc
	v_fmac_f32_e32 v44, 0xbf167918, v58
	v_fmac_f32_e32 v43, 0x3f167918, v83
	;; [unrolled: 1-line block ×3, first 2 shown]
	global_store_dwordx2 v[0:1], v[17:18], off
	global_store_dwordx2 v[0:1], v[7:8], off offset:3080
	v_add_co_u32_e32 v7, vcc, s0, v0
	v_fmac_f32_e32 v57, 0xbf737871, v82
	v_fmac_f32_e32 v56, 0x3f737871, v84
	;; [unrolled: 1-line block ×4, first 2 shown]
	v_addc_co_u32_e32 v8, vcc, 0, v1, vcc
	s_movk_i32 s0, 0x2000
	v_fmac_f32_e32 v57, 0x3f167918, v58
	v_fmac_f32_e32 v56, 0xbf167918, v83
	global_store_dwordx2 v[7:8], v[43:44], off offset:2064
	v_add_co_u32_e32 v7, vcc, s0, v0
	v_fmac_f32_e32 v57, 0x3e9e377a, v85
	v_fmac_f32_e32 v56, 0x3e9e377a, v86
	v_addc_co_u32_e32 v8, vcc, 0, v1, vcc
	v_add_u32_e32 v5, 55, v116
	global_store_dwordx2 v[7:8], v[56:57], off offset:1048
	v_mul_hi_u32 v7, v5, s1
	v_fmac_f32_e32 v32, 0x3f737871, v58
	v_fmac_f32_e32 v31, 0xbf737871, v83
	s_movk_i32 s0, 0x3000
	v_fmac_f32_e32 v32, 0x3f167918, v82
	v_fmac_f32_e32 v31, 0xbf167918, v84
	v_add_co_u32_e32 v0, vcc, s0, v0
	v_fmac_f32_e32 v32, 0x3e9e377a, v72
	v_fmac_f32_e32 v31, 0x3e9e377a, v59
	v_addc_co_u32_e32 v1, vcc, 0, v1, vcc
	global_store_dwordx2 v[0:1], v[31:32], off offset:32
	v_lshrrev_b32_e32 v0, 7, v7
	v_mul_u32_u24_e32 v1, 0x181, v0
	v_sub_u32_e32 v1, v5, v1
	s_movk_i32 s0, 0x785
	v_mad_u32_u24 v5, v0, s0, v1
	v_lshlrev_b64 v[0:1], 3, v[5:6]
	v_fmac_f32_e32 v79, 0x3f737871, v97
	v_add_co_u32_e32 v0, vcc, v2, v0
	v_addc_co_u32_e32 v1, vcc, v21, v1, vcc
	global_store_dwordx2 v[0:1], v[39:40], off
	v_add_u32_e32 v0, 0x181, v5
	v_mov_b32_e32 v1, v6
	v_lshlrev_b64 v[0:1], 3, v[0:1]
	v_fmac_f32_e32 v79, 0xbf167918, v94
	v_add_co_u32_e32 v0, vcc, v2, v0
	v_addc_co_u32_e32 v1, vcc, v21, v1, vcc
	global_store_dwordx2 v[0:1], v[29:30], off
	v_add_u32_e32 v0, 0x302, v5
	v_mov_b32_e32 v1, v6
	;; [unrolled: 7-line block ×3, first 2 shown]
	v_lshlrev_b64 v[0:1], 3, v[0:1]
	v_add_u32_e32 v5, 0x604, v5
	v_add_co_u32_e32 v0, vcc, v2, v0
	v_addc_co_u32_e32 v1, vcc, v21, v1, vcc
	global_store_dwordx2 v[0:1], v[79:80], off
	v_lshlrev_b64 v[0:1], 3, v[5:6]
	v_add_u32_e32 v5, 0x6e, v116
	v_mul_hi_u32 v7, v5, s1
	v_fmac_f32_e32 v75, 0xbf737871, v94
	v_fmac_f32_e32 v75, 0xbf167918, v97
	v_add_co_u32_e32 v0, vcc, v2, v0
	v_fmac_f32_e32 v76, 0x3e9e377a, v96
	v_fmac_f32_e32 v75, 0x3e9e377a, v92
	v_addc_co_u32_e32 v1, vcc, v21, v1, vcc
	global_store_dwordx2 v[0:1], v[75:76], off
	v_lshrrev_b32_e32 v0, 7, v7
	v_mul_u32_u24_e32 v1, 0x181, v0
	v_sub_u32_e32 v1, v5, v1
	v_mad_u32_u24 v5, v0, s0, v1
	v_lshlrev_b64 v[0:1], 3, v[5:6]
	v_add_co_u32_e32 v0, vcc, v2, v0
	v_addc_co_u32_e32 v1, vcc, v21, v1, vcc
	global_store_dwordx2 v[0:1], v[46:47], off
	v_add_u32_e32 v0, 0x181, v5
	v_mov_b32_e32 v1, v6
	v_lshlrev_b64 v[0:1], 3, v[0:1]
	v_add_co_u32_e32 v0, vcc, v2, v0
	v_addc_co_u32_e32 v1, vcc, v21, v1, vcc
	global_store_dwordx2 v[0:1], v[73:74], off
	v_add_u32_e32 v0, 0x302, v5
	v_mov_b32_e32 v1, v6
	v_lshlrev_b64 v[0:1], 3, v[0:1]
	v_add_co_u32_e32 v0, vcc, v2, v0
	v_addc_co_u32_e32 v1, vcc, v21, v1, vcc
	global_store_dwordx2 v[0:1], v[87:88], off
	v_add_u32_e32 v0, 0x483, v5
	v_mov_b32_e32 v1, v6
	v_lshlrev_b64 v[0:1], 3, v[0:1]
	v_add_u32_e32 v5, 0x604, v5
	v_add_co_u32_e32 v0, vcc, v2, v0
	v_addc_co_u32_e32 v1, vcc, v21, v1, vcc
	global_store_dwordx2 v[0:1], v[89:90], off
	v_lshlrev_b64 v[0:1], 3, v[5:6]
	v_add_u32_e32 v5, 0xa5, v116
	v_mul_hi_u32 v7, v5, s1
	v_add_co_u32_e32 v0, vcc, v2, v0
	v_addc_co_u32_e32 v1, vcc, v21, v1, vcc
	global_store_dwordx2 v[0:1], v[41:42], off
	v_lshrrev_b32_e32 v0, 7, v7
	v_mul_u32_u24_e32 v1, 0x181, v0
	v_sub_u32_e32 v1, v5, v1
	v_mad_u32_u24 v5, v0, s0, v1
	v_lshlrev_b64 v[0:1], 3, v[5:6]
	v_add_co_u32_e32 v0, vcc, v2, v0
	v_addc_co_u32_e32 v1, vcc, v21, v1, vcc
	global_store_dwordx2 v[0:1], v[70:71], off
	v_add_u32_e32 v0, 0x181, v5
	v_mov_b32_e32 v1, v6
	v_lshlrev_b64 v[0:1], 3, v[0:1]
	v_add_co_u32_e32 v0, vcc, v2, v0
	v_addc_co_u32_e32 v1, vcc, v21, v1, vcc
	global_store_dwordx2 v[0:1], v[68:69], off
	v_add_u32_e32 v0, 0x302, v5
	v_mov_b32_e32 v1, v6
	v_lshlrev_b64 v[0:1], 3, v[0:1]
	v_add_co_u32_e32 v0, vcc, v2, v0
	v_addc_co_u32_e32 v1, vcc, v21, v1, vcc
	global_store_dwordx2 v[0:1], v[66:67], off
	v_add_u32_e32 v0, 0x483, v5
	v_mov_b32_e32 v1, v6
	v_lshlrev_b64 v[0:1], 3, v[0:1]
	v_add_u32_e32 v5, 0x604, v5
	v_add_co_u32_e32 v0, vcc, v2, v0
	v_addc_co_u32_e32 v1, vcc, v21, v1, vcc
	global_store_dwordx2 v[0:1], v[62:63], off
	v_lshlrev_b64 v[0:1], 3, v[5:6]
	v_add_u32_e32 v5, 0xdc, v116
	v_mul_hi_u32 v7, v5, s1
	v_add_co_u32_e32 v0, vcc, v2, v0
	;; [unrolled: 33-line block ×4, first 2 shown]
	v_addc_co_u32_e32 v1, vcc, v21, v1, vcc
	global_store_dwordx2 v[0:1], v[19:20], off
	v_lshrrev_b32_e32 v0, 7, v7
	v_mul_u32_u24_e32 v1, 0x181, v0
	v_sub_u32_e32 v1, v5, v1
	v_mad_u32_u24 v5, v0, s0, v1
	v_lshlrev_b64 v[0:1], 3, v[5:6]
	v_add_co_u32_e32 v0, vcc, v2, v0
	v_addc_co_u32_e32 v1, vcc, v21, v1, vcc
	global_store_dwordx2 v[0:1], v[15:16], off
	v_add_u32_e32 v0, 0x181, v5
	v_mov_b32_e32 v1, v6
	v_lshlrev_b64 v[0:1], 3, v[0:1]
	v_add_co_u32_e32 v0, vcc, v2, v0
	v_addc_co_u32_e32 v1, vcc, v21, v1, vcc
	global_store_dwordx2 v[0:1], v[13:14], off
	v_add_u32_e32 v0, 0x302, v5
	v_mov_b32_e32 v1, v6
	;; [unrolled: 6-line block ×3, first 2 shown]
	v_lshlrev_b64 v[0:1], 3, v[0:1]
	v_add_u32_e32 v5, 0x604, v5
	v_add_co_u32_e32 v0, vcc, v2, v0
	v_addc_co_u32_e32 v1, vcc, v21, v1, vcc
	global_store_dwordx2 v[0:1], v[9:10], off
	v_lshlrev_b64 v[0:1], 3, v[5:6]
	v_add_co_u32_e32 v0, vcc, v2, v0
	v_addc_co_u32_e32 v1, vcc, v21, v1, vcc
	global_store_dwordx2 v[0:1], v[3:4], off
.LBB0_23:
	s_endpgm
	.section	.rodata,"a",@progbits
	.p2align	6, 0x0
	.amdhsa_kernel fft_rtc_fwd_len1925_factors_7_11_5_5_wgs_55_tpt_55_halfLds_sp_op_CI_CI_unitstride_sbrr_dirReg
		.amdhsa_group_segment_fixed_size 0
		.amdhsa_private_segment_fixed_size 0
		.amdhsa_kernarg_size 104
		.amdhsa_user_sgpr_count 6
		.amdhsa_user_sgpr_private_segment_buffer 1
		.amdhsa_user_sgpr_dispatch_ptr 0
		.amdhsa_user_sgpr_queue_ptr 0
		.amdhsa_user_sgpr_kernarg_segment_ptr 1
		.amdhsa_user_sgpr_dispatch_id 0
		.amdhsa_user_sgpr_flat_scratch_init 0
		.amdhsa_user_sgpr_private_segment_size 0
		.amdhsa_uses_dynamic_stack 0
		.amdhsa_system_sgpr_private_segment_wavefront_offset 0
		.amdhsa_system_sgpr_workgroup_id_x 1
		.amdhsa_system_sgpr_workgroup_id_y 0
		.amdhsa_system_sgpr_workgroup_id_z 0
		.amdhsa_system_sgpr_workgroup_info 0
		.amdhsa_system_vgpr_workitem_id 0
		.amdhsa_next_free_vgpr 179
		.amdhsa_next_free_sgpr 28
		.amdhsa_reserve_vcc 1
		.amdhsa_reserve_flat_scratch 0
		.amdhsa_float_round_mode_32 0
		.amdhsa_float_round_mode_16_64 0
		.amdhsa_float_denorm_mode_32 3
		.amdhsa_float_denorm_mode_16_64 3
		.amdhsa_dx10_clamp 1
		.amdhsa_ieee_mode 1
		.amdhsa_fp16_overflow 0
		.amdhsa_exception_fp_ieee_invalid_op 0
		.amdhsa_exception_fp_denorm_src 0
		.amdhsa_exception_fp_ieee_div_zero 0
		.amdhsa_exception_fp_ieee_overflow 0
		.amdhsa_exception_fp_ieee_underflow 0
		.amdhsa_exception_fp_ieee_inexact 0
		.amdhsa_exception_int_div_zero 0
	.end_amdhsa_kernel
	.text
.Lfunc_end0:
	.size	fft_rtc_fwd_len1925_factors_7_11_5_5_wgs_55_tpt_55_halfLds_sp_op_CI_CI_unitstride_sbrr_dirReg, .Lfunc_end0-fft_rtc_fwd_len1925_factors_7_11_5_5_wgs_55_tpt_55_halfLds_sp_op_CI_CI_unitstride_sbrr_dirReg
                                        ; -- End function
	.section	.AMDGPU.csdata,"",@progbits
; Kernel info:
; codeLenInByte = 23900
; NumSgprs: 32
; NumVgprs: 179
; ScratchSize: 0
; MemoryBound: 0
; FloatMode: 240
; IeeeMode: 1
; LDSByteSize: 0 bytes/workgroup (compile time only)
; SGPRBlocks: 3
; VGPRBlocks: 44
; NumSGPRsForWavesPerEU: 32
; NumVGPRsForWavesPerEU: 179
; Occupancy: 1
; WaveLimiterHint : 1
; COMPUTE_PGM_RSRC2:SCRATCH_EN: 0
; COMPUTE_PGM_RSRC2:USER_SGPR: 6
; COMPUTE_PGM_RSRC2:TRAP_HANDLER: 0
; COMPUTE_PGM_RSRC2:TGID_X_EN: 1
; COMPUTE_PGM_RSRC2:TGID_Y_EN: 0
; COMPUTE_PGM_RSRC2:TGID_Z_EN: 0
; COMPUTE_PGM_RSRC2:TIDIG_COMP_CNT: 0
	.type	__hip_cuid_bedc957040005797,@object ; @__hip_cuid_bedc957040005797
	.section	.bss,"aw",@nobits
	.globl	__hip_cuid_bedc957040005797
__hip_cuid_bedc957040005797:
	.byte	0                               ; 0x0
	.size	__hip_cuid_bedc957040005797, 1

	.ident	"AMD clang version 19.0.0git (https://github.com/RadeonOpenCompute/llvm-project roc-6.4.0 25133 c7fe45cf4b819c5991fe208aaa96edf142730f1d)"
	.section	".note.GNU-stack","",@progbits
	.addrsig
	.addrsig_sym __hip_cuid_bedc957040005797
	.amdgpu_metadata
---
amdhsa.kernels:
  - .args:
      - .actual_access:  read_only
        .address_space:  global
        .offset:         0
        .size:           8
        .value_kind:     global_buffer
      - .offset:         8
        .size:           8
        .value_kind:     by_value
      - .actual_access:  read_only
        .address_space:  global
        .offset:         16
        .size:           8
        .value_kind:     global_buffer
      - .actual_access:  read_only
        .address_space:  global
        .offset:         24
        .size:           8
        .value_kind:     global_buffer
      - .actual_access:  read_only
        .address_space:  global
        .offset:         32
        .size:           8
        .value_kind:     global_buffer
      - .offset:         40
        .size:           8
        .value_kind:     by_value
      - .actual_access:  read_only
        .address_space:  global
        .offset:         48
        .size:           8
        .value_kind:     global_buffer
      - .actual_access:  read_only
        .address_space:  global
        .offset:         56
        .size:           8
        .value_kind:     global_buffer
      - .offset:         64
        .size:           4
        .value_kind:     by_value
      - .actual_access:  read_only
        .address_space:  global
        .offset:         72
        .size:           8
        .value_kind:     global_buffer
      - .actual_access:  read_only
        .address_space:  global
        .offset:         80
        .size:           8
        .value_kind:     global_buffer
      - .actual_access:  read_only
        .address_space:  global
        .offset:         88
        .size:           8
        .value_kind:     global_buffer
      - .actual_access:  write_only
        .address_space:  global
        .offset:         96
        .size:           8
        .value_kind:     global_buffer
    .group_segment_fixed_size: 0
    .kernarg_segment_align: 8
    .kernarg_segment_size: 104
    .language:       OpenCL C
    .language_version:
      - 2
      - 0
    .max_flat_workgroup_size: 55
    .name:           fft_rtc_fwd_len1925_factors_7_11_5_5_wgs_55_tpt_55_halfLds_sp_op_CI_CI_unitstride_sbrr_dirReg
    .private_segment_fixed_size: 0
    .sgpr_count:     32
    .sgpr_spill_count: 0
    .symbol:         fft_rtc_fwd_len1925_factors_7_11_5_5_wgs_55_tpt_55_halfLds_sp_op_CI_CI_unitstride_sbrr_dirReg.kd
    .uniform_work_group_size: 1
    .uses_dynamic_stack: false
    .vgpr_count:     179
    .vgpr_spill_count: 0
    .wavefront_size: 64
amdhsa.target:   amdgcn-amd-amdhsa--gfx906
amdhsa.version:
  - 1
  - 2
...

	.end_amdgpu_metadata
